;; amdgpu-corpus repo=ROCm/rocm-libraries kind=harvested arch=n/a opt=n/a

/******************************************/
/* Begin Kernel                           */
/******************************************/
.amdgcn_target "amdgcn-amd-amdhsa--gfx942"
.text
.protected Custom_Cijk_Ailk_Bljk_F8NH_HHS_BH_Bias_GG_AS_SAB_SAV_UserArgs_shortname6_gfx942
.globl Custom_Cijk_Ailk_Bljk_F8NH_HHS_BH_Bias_GG_AS_SAB_SAV_UserArgs_shortname6_gfx942
.p2align 8
.type Custom_Cijk_Ailk_Bljk_F8NH_HHS_BH_Bias_GG_AS_SAB_SAV_UserArgs_shortname6_gfx942,@function
.section .rodata,#alloc
.p2align 6
.amdhsa_kernel Custom_Cijk_Ailk_Bljk_F8NH_HHS_BH_Bias_GG_AS_SAB_SAV_UserArgs_shortname6_gfx942
  .amdhsa_user_sgpr_kernarg_segment_ptr 1
  .amdhsa_accum_offset 256 // accvgpr offset
  .amdhsa_next_free_vgpr 512 // vgprs
  .amdhsa_next_free_sgpr 102 // sgprs
  .amdhsa_group_segment_fixed_size 65536 // lds bytes
  .amdhsa_private_segment_fixed_size 0
  .amdhsa_system_sgpr_workgroup_id_x 1
  .amdhsa_system_sgpr_workgroup_id_y 1
  .amdhsa_system_sgpr_workgroup_id_z 1
  .amdhsa_system_vgpr_workitem_id 0
  .amdhsa_float_denorm_mode_32 3
  .amdhsa_float_denorm_mode_16_64 3
  .amdhsa_user_sgpr_count 13
  .amdhsa_user_sgpr_kernarg_preload_length 11
  .amdhsa_user_sgpr_kernarg_preload_offset 0
.end_amdhsa_kernel
.text
/* Num VGPR   =256 */
/* Num AccVGPR=224 */
/* Num SGPR   =90 */

/******************************************/
/* Optimizations and Config:              */
/******************************************/
/* ThreadTile= 16 x 14 */
/* SubGroup= 16 x 16 */
/* VectorWidthA=4 */
/* VectorWidthB=1 */
/* GlobalReadVectorWidthA=4, GlobalReadVectorWidthB=8 */
/* DirectToLdsA=False */
/* DirectToLdsB=False */
/* UseSgprForGRO=1 */
.amdgpu_metadata
---
custom.config:
   ProblemType:
      OperationType: GEMM
      DataTypeA: f8n
      DataTypeB: h
      UseScaleAB: "Scalar"
      DataType: h
      DestDataType: h
      ComputeDataType: s
      HighPrecisionAccumulate: True
      TransposeA: False
      TransposeB: False
      UseBias: 1
      Activation: True
      UseScaleAlphaVec: 1
      UseBeta: True
      Batched: True
      GroupedGemm:   True
      SupportUserArgs: True
   EnableF32XdlMathOp: False
   EnableMatrixInstruction: True
   MFMA_BF16_1K: False
   MIBlock: [16, 16, 16, 1, 1, 1]
   MIInputPerThread: 4
   MIInputPerThreadA: 4
   MIInputPerThreadB: 4
   MIInputPerThreadMetadata: 4
   MIWaveGroup: [4, 1]
   MIWaveTile: [4, 14]
   MatrixInstB: 1
   MatrixInstBM: 1
   MatrixInstBN: 1
   MatrixInstK: 16
   MatrixInstM: 16
   MatrixInstN: 16
   MatrixInstruction: [16, 16, 16, 1]
   Sparse: 0
   ThreadTile: [1, 1]
   WavefrontSize: 64
   WorkGroup: [64, 4, 1]
   1LDSBuffer: 1
   ScheduleIterAlg: 3
   DepthU: 64
   StaggerU: 0
   WorkGroupMapping: 8
   WaveSeparateGlobalReadA: 1
   WaveSeparateGlobalReadB: 1
   GlobalReadVectorWidthA: 4
   GlobalReadVectorWidthB: 8
   AssertFree0ElementMultiple: 4
   AssertSummationElementMultiple: 1
   NoReject: 1
   InternalSupportParams:
      KernArgsVersion: 0
      SupportUserGSU: False
      SupportCustomWGM: False
      SupportCustomStaggerU: False
      UseUniversalArgs: False
amdhsa.version:
  - 1
  - 1
amdhsa.kernels:
  - .name: Custom_Cijk_Ailk_Bljk_F8NH_HHS_BH_Bias_GG_AS_SAB_SAV_UserArgs_shortname6_gfx942
    .symbol: 'Custom_Cijk_Ailk_Bljk_F8NH_HHS_BH_Bias_GG_AS_SAB_SAV_UserArgs_shortname6_gfx942.kd'
    .language:                   OpenCL C
    .language_version:
      - 2
      - 0
    .args:
      - .name:            SizesFree0
        .size:            4
        .offset:          0
        .value_kind:      by_value
        .value_type:      u32
      - .name:            SizesFree1
        .size:            4
        .offset:          4
        .value_kind:      by_value
        .value_type:      u32
      - .name:            SizesFree2
        .size:            4
        .offset:          8
        .value_kind:      by_value
        .value_type:      u32
      - .name:            SizesSum0
        .size:            4
        .offset:          12
        .value_kind:      by_value
        .value_type:      u32
      - .name:            D
        .size:            8
        .offset:          16
        .value_kind:      global_buffer
        .value_type:      f16
        .address_space:   generic
      - .name:            C
        .size:            8
        .offset:          24
        .value_kind:      global_buffer
        .value_type:      f16
        .address_space:   generic
      - .name:            A
        .size:            8
        .offset:          32
        .value_kind:      global_buffer
        .value_type:      f16
        .address_space:   generic
      - .name:            B
        .size:            8
        .offset:          40
        .value_kind:      global_buffer
        .value_type:      f16
        .address_space:   generic
      - .name:            strideD0
        .size:            4
        .offset:          48
        .value_kind:      by_value
        .value_type:      u32
      - .name:            strideD1
        .size:            4
        .offset:          52
        .value_kind:      by_value
        .value_type:      u32
      - .name:            strideC0
        .size:            4
        .offset:          56
        .value_kind:      by_value
        .value_type:      u32
      - .name:            strideC1
        .size:            4
        .offset:          60
        .value_kind:      by_value
        .value_type:      u32
      - .name:            strideA0
        .size:            4
        .offset:          64
        .value_kind:      by_value
        .value_type:      u32
      - .name:            strideA1
        .size:            4
        .offset:          68
        .value_kind:      by_value
        .value_type:      u32
      - .name:            strideB0
        .size:            4
        .offset:          72
        .value_kind:      by_value
        .value_type:      u32
      - .name:            strideB1
        .size:            4
        .offset:          76
        .value_kind:      by_value
        .value_type:      u32
      - .name:            alpha
        .size:            4
        .offset:          80
        .value_kind:      by_value
        .value_type:      f32
      - .name:            beta
        .size:            4
        .offset:          84
        .value_kind:      by_value
        .value_type:      f32
      - .name:            AddressScaleA
        .size:            8
        .offset:          88
        .value_kind:      global_buffer
        .value_type:      f32
        .address_space:   generic
      - .name:            AddressScaleB
        .size:            8
        .offset:          96
        .value_kind:      global_buffer
        .value_type:      f32
        .address_space:   generic
      - .name:            AddressScaleAlphaVec
        .size:            8
        .offset:          104
        .value_kind:      global_buffer
        .value_type:      f32
        .address_space:   generic
      - .name:            bias
        .size:            8
        .offset:          112
        .value_kind:      global_buffer
        .value_type:      void
        .address_space:   generic
      - .name:            biasType
        .size:            4
        .offset:          120
        .value_kind:      by_value
        .value_type:      u32
      - .name:            StrideBias
        .size:            4
        .offset:          124
        .value_kind:      by_value
        .value_type:      u32
      - .name:            activationAlpha
        .size:            4
        .offset:          128
        .value_kind:      by_value
        .value_type:      f32
      - .name:            activationBeta
        .size:            4
        .offset:          132
        .value_kind:      by_value
        .value_type:      f32
      - .name:            activationType
        .size:            4
        .offset:          136
        .value_kind:      by_value
        .value_type:      u32
    .group_segment_fixed_size:   35840
    .kernarg_segment_align:      8
    .kernarg_segment_size:       144
    .max_flat_workgroup_size:    256
    .private_segment_fixed_size: 0
    .sgpr_count:                 90
    .sgpr_spill_count:           0
    .vgpr_count:                 256
    .vgpr_spill_count:           0
    .wavefront_size:             64
...
.end_amdgpu_metadata
Custom_Cijk_Ailk_Bljk_F8NH_HHS_BH_Bias_GG_AS_SAB_SAV_UserArgs_shortname6_gfx942:
.long 0xC00206C0, 0x00000000
.long 0xC0020B80, 0x00000018
.long 0xC0060180, 0x00000004
.long 0xC0060000, 0x0000000C
.long 0xBF8CC07F
.long 0xBF82003D
	;; [unrolled: 1-line block ×63, first 2 shown]
.long 0xBEBC00FF, 0x05040100
.long 0xBEBD00FF, 0x07060302
	;; [unrolled: 1-line block ×3, first 2 shown]
.long 0x7FC40300
.long 0xBE82000D
	;; [unrolled: 1-line block ×6, first 2 shown]
.long 0xBE9A00FF, 0x0000008C
.long 0x9216841B
.long 0xBE900100
.long 0xBF820004
.long 0xBE9A00FF, 0x000000C4
.long 0xBE960080
.long 0xBE900106
.long 0xBE980081
.long 0xBE970080
.long 0xC0080308, 0x00000016
.long 0xB41B0001
	;; [unrolled: 5-line block ×3, first 2 shown]
.long 0xBE930080
.long 0x92120DFF, 0x00000249
.long 0x8E929012
.long 0x9215FF0D, 0x00002493
.long 0x80121215
.long 0x82138013
	;; [unrolled: 1-line block ×3, first 2 shown]
.long 0x9213FF12, 0x000000E0
.long 0xBF070D13
.long 0x82158012
	;; [unrolled: 1-line block ×9, first 2 shown]
.long 0xC0080308, 0x00000016
.long 0x80188118
.long 0xBF0A1B18
	;; [unrolled: 1-line block ×5, first 2 shown]
.long 0x86120CFF, 0x000000FF
.long 0x82148014
.long 0xBE930080
.long 0x92120DFF, 0x00000249
.long 0x8E929012
.long 0x9215FF0D, 0x00002493
.long 0x80121215
.long 0x82138013
	;; [unrolled: 1-line block ×3, first 2 shown]
.long 0x9213FF12, 0x000000E0
.long 0xBF070D13
.long 0x82158012
.long 0x92141514
.long 0x92140E14
.long 0x92142E14
.long 0x80171417
.long 0x808B8118
.long 0x80881417
.long 0x80820802
.long 0xBF128006
.long 0xBF84000D
.long 0x9780001B
.long 0x82018001
.long 0x920BFF0B, 0x0000008C
.long 0x80000B00
.long 0x82018001
.long 0xC0120600, 0x00000000
.long 0xC00A0A00, 0x00000040
	;; [unrolled: 1-line block ×3, first 2 shown]
.long 0xBF82000C
.long 0x920BFF0B, 0x000000C4
.long 0x80060B06
.long 0x82078007
.long 0xC0120603, 0x00000000
.long 0xC00A0A03, 0x00000040
	;; [unrolled: 1-line block ×4, first 2 shown]
.long 0x2603C4BF
.long 0x2600028F
	;; [unrolled: 1-line block ×27, first 2 shown]
.long 0xBE8F00FF, 0x000000E0
.long 0xD2850000, 0x0002000F
	;; [unrolled: 1-line block ×3, first 2 shown]
.long 0x20052687
.long 0x24040485
	;; [unrolled: 1-line block ×22, first 2 shown]
.long 0xD1FE0090, 0x02072105
.long 0x200D2087
.long 0x240C0C85
	;; [unrolled: 1-line block ×4, first 2 shown]
.long 0x7E1002FF, 0x00000100
.long 0x7E0E0218
.long 0x7E0C0D08
	;; [unrolled: 1-line block ×8, first 2 shown]
.long 0xD0CD006A, 0x00010109
.long 0xD11C6A06, 0x01A90106
	;; [unrolled: 1-line block ×3, first 2 shown]
.long 0x7E0E0219
.long 0x7E1A0506
	;; [unrolled: 1-line block ×9, first 2 shown]
.long 0xD0CD006A, 0x00010109
.long 0xD11C6A06, 0x01A90106
.long 0xBF800000
.long 0x7E1C0506
	;; [unrolled: 1-line block ×12, first 2 shown]
.long 0xD1080007, 0x0000A906
.long 0x6A0E0E02
.long 0xD0DA007E, 0x0000A907
.long 0x680C0C81
.long 0xBEFE01C1
	;; [unrolled: 1-line block ×13, first 2 shown]
.long 0xD1080007, 0x00001B06
.long 0x6A0E0E02
.long 0xD0DA007E, 0x00001B07
.long 0x680C0C81
.long 0xBEFE01C1
	;; [unrolled: 1-line block ×13, first 2 shown]
.long 0xD042006A, 0x0001002C
.long 0xBF860001
.long 0xBE9B0080
.long 0xBF06812E
.long 0xBF850012
.long 0x7E0C0C2E
.long 0x7E0C4706
.long 0x7E0E0C03
.long 0x0A0C0F06
.long 0x7E0C0F06
.long 0xD1080007, 0x00005D06
.long 0x6A0E0E03
.long 0xD0DA007E, 0x00005D07
.long 0x680C0C81
.long 0x7E0E0280
	;; [unrolled: 1-line block ×11, first 2 shown]
.long 0xBED800FF, 0x10000001
.long 0x96555803
.long 0x92545803
	;; [unrolled: 1-line block ×21, first 2 shown]
.long 0xD1080007, 0x0000AD06
.long 0x6A0E0E55
.long 0xD0DA007E, 0x0000AD07
.long 0x680C0C81
.long 0x7E0E0280
	;; [unrolled: 1-line block ×16, first 2 shown]
.long 0xD2850001, 0x00020288
.long 0xD2850001, 0x00020228
.long 0x68000101
.long 0x2003C486
	;; [unrolled: 1-line block ×4, first 2 shown]
.long 0xD1FE0091, 0x02020101
.long 0x69232284
.long 0x923E8128
.long 0x923F8228
.long 0x92408328
.long 0x92418428
.long 0x92428528
.long 0x92438628
.long 0x92448728
.long 0x9245A028
.long 0x9246A128
.long 0x9247A228
.long 0x9248A328
.long 0x9249A428
.long 0x924AA528
.long 0x924BA628
.long 0x924CA728
.long 0xD2850006, 0x0002042A
.long 0x33240D03
.long 0x69252488
	;; [unrolled: 1-line block ×15, first 2 shown]
.long 0x9657FF02, 0x00000100
.long 0x9256FF02, 0x00000100
.long 0x965508C0
.long 0x925408C0
	;; [unrolled: 1-line block ×30, first 2 shown]
.long 0xBEB300FF, 0x00020000
.long 0x9657FF03, 0x000000E0
	;; [unrolled: 1-line block ×3, first 2 shown]
.long 0x96572A56
.long 0x92562A56
	;; [unrolled: 1-line block ×32, first 2 shown]
.long 0xBEB700FF, 0x00020000
.long 0x9253C02E
.long 0x920F2853
.long 0x9253FF2E, 0x00000080
.long 0xBEAF0053
.long 0x8F0B861B
	;; [unrolled: 1-line block ×9, first 2 shown]
.long 0xD1080001, 0x00005D00
.long 0x6A02020B
.long 0xD0DA007E, 0x00005D01
.long 0x68000081
.long 0x7E020280
	;; [unrolled: 1-line block ×11, first 2 shown]
.long 0xE0501000, 0x800C9591
.long 0xE0501000, 0x3E0C9791
	;; [unrolled: 1-line block ×23, first 2 shown]
.long 0x80300F30
.long 0x82318031
	;; [unrolled: 1-line block ×14, first 2 shown]
.long 0xBE9200FF, 0x80000000
.long 0xBE9300FF, 0x00020000
.long 0xBE94001E
.long 0xBE95001F
.long 0xBE9600FF, 0x80000000
.long 0xBE9700FF, 0x00020000
.long 0x925603FF, 0x000000E0
.long 0x96552656
.long 0x92542656
	;; [unrolled: 1-line block ×39, first 2 shown]
.long 0xD3D94000, 0x18000080
.long 0xD3D94001, 0x18000080
.long 0xD3D94002, 0x18000080
.long 0xD3D94003, 0x18000080
.long 0xD3D94004, 0x18000080
.long 0xD3D94005, 0x18000080
.long 0xD3D94006, 0x18000080
.long 0xD3D94007, 0x18000080
.long 0xD3D94008, 0x18000080
.long 0xD3D94009, 0x18000080
.long 0xD3D9400A, 0x18000080
.long 0xD3D9400B, 0x18000080
.long 0xD3D9400C, 0x18000080
.long 0xD3D9400D, 0x18000080
.long 0xD3D9400E, 0x18000080
.long 0xD3D9400F, 0x18000080
.long 0xD3D94010, 0x18000080
.long 0xD3D94011, 0x18000080
.long 0xD3D94012, 0x18000080
.long 0xD3D94013, 0x18000080
.long 0xD3D94014, 0x18000080
.long 0xD3D94015, 0x18000080
.long 0xD3D94016, 0x18000080
.long 0xD3D94017, 0x18000080
.long 0xD3D94018, 0x18000080
.long 0xD3D94019, 0x18000080
.long 0xD3D9401A, 0x18000080
.long 0xD3D9401B, 0x18000080
.long 0xD3D9401C, 0x18000080
.long 0xD3D9401D, 0x18000080
.long 0xD3D9401E, 0x18000080
.long 0xD3D9401F, 0x18000080
.long 0xD3D94020, 0x18000080
.long 0xD3D94021, 0x18000080
.long 0xD3D94022, 0x18000080
.long 0xD3D94023, 0x18000080
.long 0xD3D94024, 0x18000080
.long 0xD3D94025, 0x18000080
.long 0xD3D94026, 0x18000080
.long 0xD3D94027, 0x18000080
.long 0xD3D94028, 0x18000080
.long 0xD3D94029, 0x18000080
.long 0xD3D9402A, 0x18000080
.long 0xD3D9402B, 0x18000080
.long 0xD3D9402C, 0x18000080
.long 0xD3D9402D, 0x18000080
.long 0xD3D9402E, 0x18000080
.long 0xD3D9402F, 0x18000080
.long 0xD3D94030, 0x18000080
.long 0xD3D94031, 0x18000080
.long 0xD3D94032, 0x18000080
.long 0xD3D94033, 0x18000080
.long 0xD3D94034, 0x18000080
.long 0xD3D94035, 0x18000080
.long 0xD3D94036, 0x18000080
.long 0xD3D94037, 0x18000080
.long 0xD3D94038, 0x18000080
.long 0xD3D94039, 0x18000080
.long 0xD3D9403A, 0x18000080
.long 0xD3D9403B, 0x18000080
.long 0xD3D9403C, 0x18000080
.long 0xD3D9403D, 0x18000080
.long 0xD3D9403E, 0x18000080
.long 0xD3D9403F, 0x18000080
.long 0xD3D94040, 0x18000080
.long 0xD3D94041, 0x18000080
.long 0xD3D94042, 0x18000080
.long 0xD3D94043, 0x18000080
.long 0xD3D94044, 0x18000080
.long 0xD3D94045, 0x18000080
.long 0xD3D94046, 0x18000080
.long 0xD3D94047, 0x18000080
.long 0xD3D94048, 0x18000080
.long 0xD3D94049, 0x18000080
.long 0xD3D9404A, 0x18000080
.long 0xD3D9404B, 0x18000080
.long 0xD3D9404C, 0x18000080
.long 0xD3D9404D, 0x18000080
.long 0xD3D9404E, 0x18000080
.long 0xD3D9404F, 0x18000080
.long 0xD3D94050, 0x18000080
.long 0xD3D94051, 0x18000080
.long 0xD3D94052, 0x18000080
.long 0xD3D94053, 0x18000080
.long 0xD3D94054, 0x18000080
.long 0xD3D94055, 0x18000080
.long 0xD3D94056, 0x18000080
.long 0xD3D94057, 0x18000080
.long 0xD3D94058, 0x18000080
.long 0xD3D94059, 0x18000080
.long 0xD3D9405A, 0x18000080
.long 0xD3D9405B, 0x18000080
.long 0xD3D9405C, 0x18000080
.long 0xD3D9405D, 0x18000080
.long 0xD3D9405E, 0x18000080
.long 0xD3D9405F, 0x18000080
.long 0xD3D94060, 0x18000080
.long 0xD3D94061, 0x18000080
.long 0xD3D94062, 0x18000080
.long 0xD3D94063, 0x18000080
.long 0xD3D94064, 0x18000080
.long 0xD3D94065, 0x18000080
.long 0xD3D94066, 0x18000080
.long 0xD3D94067, 0x18000080
.long 0xD3D94068, 0x18000080
.long 0xD3D94069, 0x18000080
.long 0xD3D9406A, 0x18000080
.long 0xD3D9406B, 0x18000080
.long 0xD3D9406C, 0x18000080
.long 0xD3D9406D, 0x18000080
.long 0xD3D9406E, 0x18000080
.long 0xD3D9406F, 0x18000080
.long 0xD3D94070, 0x18000080
.long 0xD3D94071, 0x18000080
.long 0xD3D94072, 0x18000080
.long 0xD3D94073, 0x18000080
.long 0xD3D94074, 0x18000080
.long 0xD3D94075, 0x18000080
.long 0xD3D94076, 0x18000080
.long 0xD3D94077, 0x18000080
.long 0xD3D94078, 0x18000080
.long 0xD3D94079, 0x18000080
.long 0xD3D9407A, 0x18000080
.long 0xD3D9407B, 0x18000080
.long 0xD3D9407C, 0x18000080
.long 0xD3D9407D, 0x18000080
.long 0xD3D9407E, 0x18000080
.long 0xD3D9407F, 0x18000080
.long 0xD3D94080, 0x18000080
.long 0xD3D94081, 0x18000080
.long 0xD3D94082, 0x18000080
.long 0xD3D94083, 0x18000080
.long 0xD3D94084, 0x18000080
.long 0xD3D94085, 0x18000080
.long 0xD3D94086, 0x18000080
.long 0xD3D94087, 0x18000080
.long 0xD3D94088, 0x18000080
.long 0xD3D94089, 0x18000080
.long 0xD3D9408A, 0x18000080
.long 0xD3D9408B, 0x18000080
.long 0xD3D9408C, 0x18000080
.long 0xD3D9408D, 0x18000080
.long 0xD3D9408E, 0x18000080
.long 0xD3D9408F, 0x18000080
.long 0xD3D94090, 0x18000080
.long 0xD3D94091, 0x18000080
.long 0xD3D94092, 0x18000080
.long 0xD3D94093, 0x18000080
.long 0xD3D94094, 0x18000080
.long 0xD3D94095, 0x18000080
.long 0xD3D94096, 0x18000080
.long 0xD3D94097, 0x18000080
.long 0xD3D94098, 0x18000080
.long 0xD3D94099, 0x18000080
.long 0xD3D9409A, 0x18000080
.long 0xD3D9409B, 0x18000080
.long 0xD3D9409C, 0x18000080
.long 0xD3D9409D, 0x18000080
.long 0xD3D9409E, 0x18000080
.long 0xD3D9409F, 0x18000080
.long 0xD3D940A0, 0x18000080
.long 0xD3D940A1, 0x18000080
.long 0xD3D940A2, 0x18000080
.long 0xD3D940A3, 0x18000080
.long 0xD3D940A4, 0x18000080
.long 0xD3D940A5, 0x18000080
.long 0xD3D940A6, 0x18000080
.long 0xD3D940A7, 0x18000080
.long 0xD3D940A8, 0x18000080
.long 0xD3D940A9, 0x18000080
.long 0xD3D940AA, 0x18000080
.long 0xD3D940AB, 0x18000080
.long 0xD3D940AC, 0x18000080
.long 0xD3D940AD, 0x18000080
.long 0xD3D940AE, 0x18000080
.long 0xD3D940AF, 0x18000080
.long 0xD3D940B0, 0x18000080
.long 0xD3D940B1, 0x18000080
.long 0xD3D940B2, 0x18000080
.long 0xD3D940B3, 0x18000080
.long 0xD3D940B4, 0x18000080
.long 0xD3D940B5, 0x18000080
.long 0xD3D940B6, 0x18000080
.long 0xD3D940B7, 0x18000080
.long 0xD3D940B8, 0x18000080
.long 0xD3D940B9, 0x18000080
.long 0xD3D940BA, 0x18000080
.long 0xD3D940BB, 0x18000080
.long 0xD3D940BC, 0x18000080
.long 0xD3D940BD, 0x18000080
.long 0xD3D940BE, 0x18000080
.long 0xD3D940BF, 0x18000080
.long 0xD3D940C0, 0x18000080
.long 0xD3D940C1, 0x18000080
.long 0xD3D940C2, 0x18000080
.long 0xD3D940C3, 0x18000080
.long 0xD3D940C4, 0x18000080
.long 0xD3D940C5, 0x18000080
.long 0xD3D940C6, 0x18000080
.long 0xD3D940C7, 0x18000080
.long 0xD3D940C8, 0x18000080
.long 0xD3D940C9, 0x18000080
.long 0xD3D940CA, 0x18000080
.long 0xD3D940CB, 0x18000080
.long 0xD3D940CC, 0x18000080
.long 0xD3D940CD, 0x18000080
.long 0xD3D940CE, 0x18000080
.long 0xD3D940CF, 0x18000080
.long 0xD3D940D0, 0x18000080
.long 0xD3D940D1, 0x18000080
.long 0xD3D940D2, 0x18000080
.long 0xD3D940D3, 0x18000080
.long 0xD3D940D4, 0x18000080
.long 0xD3D940D5, 0x18000080
.long 0xD3D940D6, 0x18000080
.long 0xD3D940D7, 0x18000080
.long 0xD3D940D8, 0x18000080
.long 0xD3D940D9, 0x18000080
.long 0xD3D940DA, 0x18000080
.long 0xD3D940DB, 0x18000080
.long 0xD3D940DC, 0x18000080
.long 0xD3D940DD, 0x18000080
.long 0xD3D940DE, 0x18000080
.long 0xD3D940DF, 0x18000080
.long 0xBF06800B
.long 0xBF840006
	;; [unrolled: 1-line block ×3, first 2 shown]
.long 0x815684FF, 0x00002530
.long 0x80545654
.long 0x82558055
	;; [unrolled: 1-line block ×20, first 2 shown]
.long 0xD9BE0000, 0x0000B490
.long 0xD9BE0500, 0x0000B890
	;; [unrolled: 1-line block ×7, first 2 shown]
.long 0xBF06810B
.long 0xBF85002E
.long 0xE0501000, 0x800C9591
.long 0xE0501000, 0x3E0C9791
	;; [unrolled: 1-line block ×23, first 2 shown]
.long 0xBF8CC07F
.long 0xBF8A0000
.long 0x7FC0ACF9, 0x000406D0
.long 0x7E0014F9, 0x000614E0
	;; [unrolled: 1-line block ×38, first 2 shown]
.long 0xBF06810B
.long 0xBF850635
.long 0xBF0B820B
.long 0xBF850332
.long 0xBF8CC07F
.long 0xD3CD8000, 0x04020120
.long 0xD9FE0040, 0x58000093
.long 0x80300F30
.long 0xD3CD8004, 0x04120520
.long 0xD9FE0A40, 0x5C000093
.long 0x82318031
	;; [unrolled: 3-line block ×12, first 2 shown]
.long 0xD3CD8030, 0x04C2012C
.long 0xD9FE7840, 0x88000093
	;; [unrolled: 1-line block ×55, first 2 shown]
.long 0xBF8CC07F
.long 0xBF8A0000
.long 0xD3CD808C, 0x06320D40
.long 0xBF8C4F76
.long 0x7FA00395
.long 0xD3CD8090, 0x06420144
.long 0xE0501000, 0x800C9591
	;; [unrolled: 1-line block ×23, first 2 shown]
.long 0xBF8C4F76
.long 0x7FA20397
.long 0xD3CD80AC, 0x06B20D48
.long 0xE0501000, 0x3E0C9791
	;; [unrolled: 1-line block ×23, first 2 shown]
.long 0xBF8C4F76
.long 0x7FA40399
.long 0xD3CD80C8, 0x07220950
.long 0xE0501000, 0x3F0C9991
	;; [unrolled: 1-line block ×19, first 2 shown]
.long 0xBF8CCB7F
.long 0xD3CD8000, 0x04021122
.long 0xBF8C4F76
.long 0x7FA6039B
.long 0xD3CD8004, 0x04121522
.long 0xE0501000, 0x400C9B91
.long 0xD3CD8008, 0x04221922
.long 0xD3CD800C, 0x04321D22
.long 0xD3CD8010, 0x04421126
.long 0xD3CD8014, 0x04521526
.long 0xD3CD8018, 0x04621926
.long 0xD3CD801C, 0x04721D26
.long 0xBF8C4F76
.long 0x7FA8039D
.long 0xD3CD8020, 0x0482112A
.long 0xE0501000, 0x410C9D91
.long 0xD3CD8024, 0x0492152A
.long 0xD3CD8028, 0x04A2192A
.long 0xD3CD802C, 0x04B21D2A
.long 0xD3CD8030, 0x04C2112E
.long 0xD3CD8034, 0x04D2152E
	;; [unrolled: 10-line block ×4, first 2 shown]
.long 0xD3CD8070, 0x05C2113E
.long 0xD3CD8074, 0x05D2153E
.long 0xBF8C4F76
.long 0x7FAE03A3
.long 0xD3CD8078, 0x05E2193E
.long 0xE0501000, 0x440CA391
.long 0xD3CD807C, 0x05F21D3E
.long 0xD3CD8080, 0x06021142
.long 0xD3CD8084, 0x06121542
.long 0xD3CD8088, 0x06221942
.long 0xD3CD808C, 0x06321D42
.long 0xD3CD8090, 0x06421146
.long 0xBF8C4F76
.long 0x7FB003A5
.long 0xD3CD8094, 0x06521546
.long 0xE0501000, 0x450CA591
.long 0xD3CD8098, 0x06621946
.long 0xD3CD809C, 0x06721D46
.long 0xD3CD80A0, 0x0682114A
.long 0xD3CD80A4, 0x0692154A
	;; [unrolled: 10-line block ×4, first 2 shown]
.long 0xBF8CC87F
.long 0xD3CD8000, 0x04022158
.long 0xD3CD8004, 0x04122558
.long 0xBF8C4F76
.long 0x7FB603AB
.long 0xD3CD8008, 0x04222958
.long 0xE0501000, 0x480CAB91
.long 0xD3CD800C, 0x04322D58
.long 0xD3CD8010, 0x0442215C
.long 0xD3CD8014, 0x0452255C
.long 0xD3CD8018, 0x0462295C
.long 0xD3CD801C, 0x04722D5C
.long 0xD3CD8020, 0x04822160
.long 0xBF8C4F76
.long 0x7FB803AD
.long 0xD3CD8024, 0x04922560
.long 0xE0501000, 0x490CAD91
.long 0xD3CD8028, 0x04A22960
.long 0xD3CD802C, 0x04B22D60
.long 0xD3CD8030, 0x04C22164
.long 0xD3CD8034, 0x04D22564
	;; [unrolled: 10-line block ×3, first 2 shown]
.long 0xD3CD8054, 0x0552256C
.long 0xD3CD8058, 0x0562296C
	;; [unrolled: 1-line block ×3, first 2 shown]
.long 0xBF8C4F76
.long 0x7FBC03B1
.long 0xD3CD8060, 0x05822170
.long 0xE0501000, 0x4B0CB191
.long 0xD3CD8064, 0x05922570
.long 0xD3CD8068, 0x05A22970
.long 0xD3CD806C, 0x05B22D70
.long 0xD3CD8070, 0x05C22174
.long 0xD3CD8074, 0x05D22574
.long 0xD3CD8078, 0x05E22974
.long 0xBF8C4F76
.long 0x7FBE03B3
.long 0xD3CD807C, 0x05F22D74
.long 0xE0501000, 0x4C0CB391
.long 0xD3CD8080, 0x06022178
.long 0xD3CD8084, 0x06122578
.long 0xD3CD8088, 0x06222978
.long 0xD3CD808C, 0x06322D78
.long 0xD3CD8090, 0x0642217C
.long 0xD3CD8094, 0x0652257C
.long 0xBF8C4F76
.long 0xD9BE0000, 0x0000B490
.long 0xD3CD8098, 0x0662297C
.long 0xE05C1000, 0x800DB492
.long 0xD3CD809C, 0x06722D7C
.long 0xD3CD80A0, 0x06822180
.long 0xD3CD80A4, 0x06922580
.long 0xD3CD80A8, 0x06A22980
.long 0xD3CD80AC, 0x06B22D80
.long 0xD3CD80B0, 0x06C22184
.long 0xBF8C4F76
.long 0xD9BE0500, 0x0000B890
	;; [unrolled: 10-line block ×3, first 2 shown]
.long 0xD3CD80D0, 0x0742218C
.long 0xE05C1000, 0x4E0DBC92
	;; [unrolled: 1-line block ×5, first 2 shown]
.long 0xBF8CC87F
.long 0xD3CD8000, 0x0402315A
.long 0xD3CD8004, 0x0412355A
	;; [unrolled: 1-line block ×3, first 2 shown]
.long 0xBF8C4F76
.long 0xD9BE0F00, 0x0000C090
.long 0xD3CD800C, 0x04323D5A
	;; [unrolled: 1-line block ×9, first 2 shown]
.long 0xBF8C4F76
.long 0xD9BE1400, 0x0000C490
.long 0xD3CD8028, 0x04A23962
	;; [unrolled: 1-line block ×10, first 2 shown]
.long 0xBF8C4F76
.long 0xD9BE1900, 0x0000C890
.long 0xD3CD8048, 0x0522396A
	;; [unrolled: 1-line block ×9, first 2 shown]
.long 0xBF8C4F76
.long 0xD9BE1E00, 0x0000CC90
.long 0xD3CD8064, 0x05923572
	;; [unrolled: 1-line block ×5, first 2 shown]
.long 0xBF8CC07F
.long 0xBF8A0000
.long 0xD3CD8070, 0x05C23176
.long 0xD9FE0000, 0x20000093
	;; [unrolled: 1-line block ×66, first 2 shown]
.long 0x808B810B
.long 0xBF00820B
	;; [unrolled: 1-line block ×4, first 2 shown]
.long 0xD3CD8000, 0x04020120
.long 0xD9FE0040, 0x58000093
.long 0x80300F30
.long 0xD3CD8004, 0x04120520
.long 0xD9FE0A40, 0x5C000093
.long 0x82318031
.long 0xD3CD8008, 0x04220920
.long 0xD9FE1440, 0x60000093
.long 0x80B80F38
.long 0xD3CD800C, 0x04320D20
.long 0xD9FE1E40, 0x64000093
.long 0x82B98039
.long 0xD3CD8010, 0x04420124
.long 0xD9FE2840, 0x68000093
.long 0xBF068039
.long 0xD3CD8014, 0x04520524
.long 0xD9FE3240, 0x6C000093
.long 0xBEB20238
.long 0xD3CD8018, 0x04620924
.long 0xD9FE3C40, 0x70000093
.long 0x80342F34
.long 0xD3CD801C, 0x04720D24
.long 0xD9FE4640, 0x74000093
.long 0x82358035
.long 0xD3CD8020, 0x04820128
.long 0xD9FE5040, 0x78000093
.long 0x80BA2F3A
.long 0xD3CD8024, 0x04920528
.long 0xD9FE5A40, 0x7C000093
.long 0x82BB803B
.long 0xD3CD8028, 0x04A20928
.long 0xD9FE6440, 0x80000093
.long 0xBF06803B
.long 0xD3CD802C, 0x04B20D28
.long 0xD9FE6E40, 0x84000093
.long 0xBEB6023A
.long 0xD3CD8030, 0x04C2012C
.long 0xD9FE7840, 0x88000093
	;; [unrolled: 1-line block ×46, first 2 shown]
.long 0xBF8CC07F
.long 0xBF8A0000
.long 0xD3CD808C, 0x06320D40
.long 0xBF8C4F76
.long 0x7FA00395
.long 0xD3CD8090, 0x06420144
.long 0x7FC0ACF9, 0x000506D7
	;; [unrolled: 1-line block ×25, first 2 shown]
.long 0xBF8C4F75
.long 0x7FA20397
.long 0xD3CD80AC, 0x06B20D48
.long 0x7FC0ACF9, 0x000506DA
	;; [unrolled: 1-line block ×25, first 2 shown]
.long 0xBF8C4F74
.long 0x7FA40399
.long 0xD3CD80C8, 0x07220950
.long 0x7FC0ACF9, 0x000506DD
	;; [unrolled: 1-line block ×21, first 2 shown]
.long 0xBF8CCB7F
.long 0xD3CD8000, 0x04021122
.long 0xBF8C4F73
.long 0x7FA6039B
.long 0xD3CD8004, 0x04121522
.long 0xD3CD8008, 0x04221922
.long 0xD3CD800C, 0x04321D22
.long 0xD3CD8010, 0x04421126
.long 0xD3CD8014, 0x04521526
.long 0xD3CD8018, 0x04621926
.long 0xD3CD801C, 0x04721D26
.long 0xBF8C4F72
.long 0x7FA8039D
.long 0xD3CD8020, 0x0482112A
.long 0xD3CD8024, 0x0492152A
.long 0xD3CD8028, 0x04A2192A
.long 0xD3CD802C, 0x04B21D2A
.long 0xD3CD8030, 0x04C2112E
.long 0xD3CD8034, 0x04D2152E
	;; [unrolled: 9-line block ×4, first 2 shown]
.long 0xD3CD8070, 0x05C2113E
.long 0xD3CD8074, 0x05D2153E
.long 0xBF8C0F7F
.long 0x7FAE03A3
.long 0xD3CD8078, 0x05E2193E
.long 0xD3CD807C, 0x05F21D3E
.long 0xD3CD8080, 0x06021142
.long 0xD3CD8084, 0x06121542
.long 0xD3CD8088, 0x06221942
.long 0xD3CD808C, 0x06321D42
.long 0xD3CD8090, 0x06421146
.long 0xBF8C0F7E
.long 0x7FB003A5
.long 0xD3CD8094, 0x06521546
.long 0xD3CD8098, 0x06621946
.long 0xD3CD809C, 0x06721D46
.long 0xD3CD80A0, 0x0682114A
.long 0xD3CD80A4, 0x0692154A
	;; [unrolled: 9-line block ×4, first 2 shown]
.long 0xBF8CC87F
.long 0xD3CD8000, 0x04022158
.long 0xD3CD8004, 0x04122558
.long 0xBF8C0F7B
.long 0x7FB603AB
.long 0xD3CD8008, 0x04222958
.long 0xD3CD800C, 0x04322D58
.long 0xD3CD8010, 0x0442215C
.long 0xD3CD8014, 0x0452255C
.long 0xD3CD8018, 0x0462295C
.long 0xD3CD801C, 0x04722D5C
.long 0xD3CD8020, 0x04822160
.long 0xBF8C0F7A
.long 0x7FB803AD
.long 0xD3CD8024, 0x04922560
.long 0xD3CD8028, 0x04A22960
.long 0xD3CD802C, 0x04B22D60
.long 0xD3CD8030, 0x04C22164
.long 0xD3CD8034, 0x04D22564
.long 0xD3CD8038, 0x04E22964
.long 0xD3CD803C, 0x04F22D64
.long 0xBF8C0F79
.long 0x7FBA03AF
.long 0xD3CD8040, 0x05022168
.long 0xD3CD8044, 0x05122568
.long 0xD3CD8048, 0x05222968
.long 0xD3CD804C, 0x05322D68
.long 0xD3CD8050, 0x0542216C
.long 0xD3CD8054, 0x0552256C
.long 0xD3CD8058, 0x0562296C
	;; [unrolled: 1-line block ×3, first 2 shown]
.long 0xBF8C0F78
.long 0x7FBC03B1
.long 0xD3CD8060, 0x05822170
.long 0xD3CD8064, 0x05922570
	;; [unrolled: 1-line block ×7, first 2 shown]
.long 0xBF8C0F77
.long 0x7FBE03B3
.long 0xD3CD807C, 0x05F22D74
.long 0xD3CD8080, 0x06022178
.long 0xD3CD8084, 0x06122578
.long 0xD3CD8088, 0x06222978
.long 0xD3CD808C, 0x06322D78
.long 0xD3CD8090, 0x0642217C
.long 0xD3CD8094, 0x0652257C
.long 0xBF8C0F76
.long 0xD9BE0000, 0x0000B490
.long 0xD3CD8098, 0x0662297C
.long 0xD3CD809C, 0x06722D7C
.long 0xD3CD80A0, 0x06822180
.long 0xD3CD80A4, 0x06922580
.long 0xD3CD80A8, 0x06A22980
.long 0xD3CD80AC, 0x06B22D80
.long 0xD3CD80B0, 0x06C22184
.long 0xBF8C0F75
.long 0xD9BE0500, 0x0000B890
	;; [unrolled: 9-line block ×3, first 2 shown]
.long 0xD3CD80D0, 0x0742218C
.long 0xD3CD80D4, 0x0752258C
	;; [unrolled: 1-line block ×4, first 2 shown]
.long 0xBF8CC87F
.long 0xD3CD8000, 0x0402315A
.long 0xD3CD8004, 0x0412355A
	;; [unrolled: 1-line block ×3, first 2 shown]
.long 0xBF8C0F73
.long 0xD9BE0F00, 0x0000C090
.long 0xD3CD800C, 0x04323D5A
	;; [unrolled: 1-line block ×8, first 2 shown]
.long 0xBF8C0F72
.long 0xD9BE1400, 0x0000C490
.long 0xD3CD8028, 0x04A23962
	;; [unrolled: 1-line block ×9, first 2 shown]
.long 0xBF8C0F71
.long 0xD9BE1900, 0x0000C890
.long 0xD3CD8048, 0x0522396A
	;; [unrolled: 1-line block ×8, first 2 shown]
.long 0xBF8C0F70
.long 0xD9BE1E00, 0x0000CC90
.long 0xD3CD8064, 0x05923572
	;; [unrolled: 1-line block ×4, first 2 shown]
.long 0xBF8CC07F
.long 0xBF8A0000
.long 0xD3CD8070, 0x05C23176
.long 0xD9FE0000, 0x20000093
	;; [unrolled: 1-line block ×66, first 2 shown]
.long 0xBF06812E
.long 0xBF840000
	;; [unrolled: 1-line block ×3, first 2 shown]
.long 0xD3CD8000, 0x04020120
.long 0xD3CD8004, 0x04120520
	;; [unrolled: 1-line block ×142, first 2 shown]
.long 0xBF8CC87F
.long 0xD3CD8000, 0x04021122
.long 0xD3CD8004, 0x04121522
	;; [unrolled: 1-line block ×56, first 2 shown]
.long 0xBF8CC07F
.long 0xD3CD8000, 0x04022158
.long 0xD3CD8004, 0x04122558
	;; [unrolled: 1-line block ×54, first 2 shown]
.long 0xBF8CC07F
.long 0xBF8A0000
.long 0xD3CD80D8, 0x0762298C
.long 0xD3CD80DC, 0x07722D8C
.long 0xBF8CC07F
.long 0xD3CD8000, 0x0402315A
.long 0xD3CD8004, 0x0412355A
.long 0xD3CD8008, 0x0422395A
.long 0xD3CD800C, 0x04323D5A
.long 0xD3CD8010, 0x0442315E
.long 0xD3CD8014, 0x0452355E
.long 0xD3CD8018, 0x0462395E
.long 0xD3CD801C, 0x04723D5E
.long 0xD3CD8020, 0x04823162
.long 0xD3CD8024, 0x04923562
.long 0xD3CD8028, 0x04A23962
.long 0xD3CD802C, 0x04B23D62
.long 0xD3CD8030, 0x04C23166
.long 0xD3CD8034, 0x04D23566
.long 0xD3CD8038, 0x04E23966
.long 0xD3CD803C, 0x04F23D66
.long 0xD3CD8040, 0x0502316A
.long 0xD3CD8044, 0x0512356A
.long 0xD3CD8048, 0x0522396A
.long 0xD3CD804C, 0x05323D6A
.long 0xD3CD8050, 0x0542316E
.long 0xD3CD8054, 0x0552356E
.long 0xD3CD8058, 0x0562396E
.long 0xD3CD805C, 0x05723D6E
.long 0xD3CD8060, 0x05823172
.long 0xD3CD8064, 0x05923572
.long 0xD3CD8068, 0x05A23972
.long 0xD3CD806C, 0x05B23D72
.long 0xD3CD8070, 0x05C23176
.long 0xD3CD8074, 0x05D23576
.long 0xD3CD8078, 0x05E23976
.long 0xD3CD807C, 0x05F23D76
.long 0xD3CD8080, 0x0602317A
.long 0xD3CD8084, 0x0612357A
.long 0xD3CD8088, 0x0622397A
.long 0xD3CD808C, 0x06323D7A
.long 0xD3CD8090, 0x0642317E
.long 0xD3CD8094, 0x0652357E
.long 0xD3CD8098, 0x0662397E
.long 0xD3CD809C, 0x06723D7E
.long 0xD3CD80A0, 0x06823182
.long 0xD3CD80A4, 0x06923582
.long 0xD3CD80A8, 0x06A23982
.long 0xD3CD80AC, 0x06B23D82
.long 0xD3CD80B0, 0x06C23186
.long 0xD3CD80B4, 0x06D23586
.long 0xD3CD80B8, 0x06E23986
.long 0xD3CD80BC, 0x06F23D86
.long 0xD3CD80C0, 0x0702318A
.long 0xD3CD80C4, 0x0712358A
.long 0xD3CD80C8, 0x0722398A
.long 0xD3CD80CC, 0x07323D8A
.long 0xD3CD80D0, 0x0742318E
.long 0xD3CD80D4, 0x0752358E
.long 0xD3CD80D8, 0x0762398E
.long 0xD3CD80DC, 0x07723D8E
.long 0x860B1BBF
.long 0xBF070908
.long 0xBE8B0280
.long 0xBF06800B
.long 0xBE8C0080
.long 0xBF8503A0
.long 0x2603C4BF
.long 0x2600028F
.long 0x20020284
.long 0x26020280
.long 0x24020284
.long 0x68000101
.long 0x24000082
.long 0x2603C4BF
.long 0x20020284
.long 0xD2850001, 0x00020284
.long 0xD2850001, 0x00020228
.long 0x68000101
.long 0x2003C486
	;; [unrolled: 1-line block ×4, first 2 shown]
.long 0xD1FE0091, 0x02020101
.long 0x69232284
.long 0x923E8128
	;; [unrolled: 1-line block ×16, first 2 shown]
.long 0xE0801000, 0x800C9591
.long 0xE0801001, 0x800C0091
.long 0xE0841002, 0x800C0191
.long 0xE0841003, 0x800C0291
.long 0xBF8C0F72
.long 0x24000088
.long 0x292A0195
.long 0xBF8C0F71
.long 0x292A0395
.long 0xBF8C0F70
.long 0x24040488
.long 0x292A0595
.long 0xE0801000, 0x3E0C9791
.long 0xE0801001, 0x3E0C0091
.long 0xE0841002, 0x3E0C0191
.long 0xE0841003, 0x3E0C0291
.long 0xBF8C0F72
.long 0x24000088
.long 0x292E0197
.long 0xBF8C0F71
.long 0x292E0397
.long 0xBF8C0F70
.long 0x24040488
.long 0x292E0597
	;; [unrolled: 12-line block ×16, first 2 shown]
.long 0xE0901000, 0x800DB492
.long 0xE0941002, 0x800D0092
.long 0xBF8C0F70
.long 0x296801B4
.long 0xE0901004, 0x800DB592
.long 0xE0941006, 0x800D0092
.long 0xBF8C0F70
.long 0x296A01B5
	;; [unrolled: 4-line block ×28, first 2 shown]
.long 0xBF8C0F70
.long 0xBF8A0000
	;; [unrolled: 1-line block ×18, first 2 shown]
.long 0xD9BE0000, 0x0000B490
.long 0xD9BE0500, 0x0000B890
	;; [unrolled: 1-line block ×7, first 2 shown]
.long 0x2603C4BF
.long 0x2600028F
	;; [unrolled: 1-line block ×27, first 2 shown]
.long 0xBE8500FF, 0x000000E0
.long 0xD2850000, 0x00020005
	;; [unrolled: 1-line block ×3, first 2 shown]
.long 0x20052687
.long 0x24040485
	;; [unrolled: 1-line block ×5, first 2 shown]
.long 0x7FC0ACF9, 0x000406D0
.long 0x7E0014F9, 0x000614E0
	;; [unrolled: 1-line block ×24, first 2 shown]
.long 0x7FA003D4
.long 0x7FA203D5
	;; [unrolled: 1-line block ×12, first 2 shown]
.long 0xD8EC0000, 0x20000093
.long 0xD8EC0A00, 0x22000093
	;; [unrolled: 1-line block ×14, first 2 shown]
.long 0xBE8500A0
.long 0x33272605
.long 0xBF8CC07F
.long 0x2731C4BF
.long 0x21313084
.long 0x25313082
.long 0xD0C60054, 0x00001798
.long 0xD1000000, 0x01510100
	;; [unrolled: 1-line block ×37, first 2 shown]
.long 0x6B31300B
.long 0xD0C10054, 0x00010998
.long 0x8656830B
.long 0x80D65684
	;; [unrolled: 1-line block ×3, first 2 shown]
.long 0xD28F009A, 0x00020056
.long 0xD1000000, 0x01533500
	;; [unrolled: 1-line block ×54, first 2 shown]
.long 0xBF800001
.long 0xD3CD8000, 0x04020120
.long 0xD3CD8004, 0x04120520
	;; [unrolled: 1-line block ×56, first 2 shown]
.long 0x818B900B
.long 0x800C900C
	;; [unrolled: 1-line block ×8, first 2 shown]
.long 0xC00E0C00, 0x00000058
.long 0xC00A0E00, 0x00000078
	;; [unrolled: 1-line block ×3, first 2 shown]
.long 0xBF82000A
.long 0xC00A0C03, 0x00000070
.long 0xC00A0D03, 0x00000090
	;; [unrolled: 1-line block ×5, first 2 shown]
.long 0x2009C486
.long 0x200A0882
.long 0xD2850005, 0x00020A90
.long 0x2603C4BF
.long 0x20020284
	;; [unrolled: 1-line block ×3, first 2 shown]
.long 0xD1FE0001, 0x02020305
.long 0xD2850002, 0x00004D01
	;; [unrolled: 1-line block ×3, first 2 shown]
.long 0x26000883
.long 0xD2850000, 0x00020090
.long 0x260BC48F
.long 0xD1FE0000, 0x020A0105
.long 0x920502FF, 0x00000100
.long 0x68000005
.long 0x920503FF, 0x000000E0
.long 0x68020205
.long 0xBF8CC07F
	;; [unrolled: 1-line block ×4, first 2 shown]
.long 0x864818FF, 0x000000FF
.long 0x80490DC1
.long 0xBF094902
.long 0x85488048
.long 0xB5480000
.long 0xBF8502F2
.long 0xBECB0080
.long 0x924A19FF, 0x00000249
.long 0x8ECA904A
.long 0x9249FF19, 0x00002493
.long 0x804A4A49
.long 0x824B804B
.long 0x8FCAA14A
.long 0xBEC9004A
.long 0x924AFF49, 0x000000E0
.long 0x80C84A19
.long 0x80490EC1
	;; [unrolled: 1-line block ×6, first 2 shown]
.long 0xD1FE0006, 0x020A0103
.long 0xD3D84008, 0x18000100
	;; [unrolled: 1-line block ×65, first 2 shown]
.long 0xBF800001
.long 0xE07C1000, 0x80040806
.long 0x8E3E8224
.long 0x80103E10
.long 0x82118011
.long 0xE07C1000, 0x80040C06
.long 0x8E3E8224
.long 0x80103E10
	;; [unrolled: 4-line block ×15, first 2 shown]
.long 0x82118011
.long 0xE07C1000, 0x80044406
.long 0xBF800000
.long 0xD3D84008, 0x18000140
.long 0xD3D84009, 0x18000144
	;; [unrolled: 1-line block ×64, first 2 shown]
.long 0xBF800001
.long 0x923EB424
	;; [unrolled: 1-line block ×4, first 2 shown]
.long 0xE07C1000, 0x80040806
.long 0x8E3E8224
.long 0x80103E10
.long 0x82118011
.long 0xE07C1000, 0x80040C06
.long 0x8E3E8224
.long 0x80103E10
.long 0x82118011
.long 0xE07C1000, 0x80041006
.long 0x8E3E8224
.long 0x80103E10
.long 0x82118011
.long 0xE07C1000, 0x80041406
.long 0x923EB424
.long 0x80103E10
.long 0x82118011
.long 0xE07C1000, 0x80041806
.long 0x8E3E8224
.long 0x80103E10
.long 0x82118011
.long 0xE07C1000, 0x80041C06
.long 0x8E3E8224
.long 0x80103E10
.long 0x82118011
.long 0xE07C1000, 0x80042006
.long 0x8E3E8224
.long 0x80103E10
.long 0x82118011
.long 0xE07C1000, 0x80042406
.long 0x923EB424
.long 0x80103E10
.long 0x82118011
.long 0xE07C1000, 0x80042806
.long 0x8E3E8224
.long 0x80103E10
.long 0x82118011
.long 0xE07C1000, 0x80042C06
.long 0x8E3E8224
.long 0x80103E10
.long 0x82118011
.long 0xE07C1000, 0x80043006
.long 0x8E3E8224
.long 0x80103E10
.long 0x82118011
.long 0xE07C1000, 0x80043406
.long 0x923EB424
.long 0x80103E10
.long 0x82118011
.long 0xE07C1000, 0x80043806
.long 0x8E3E8224
.long 0x80103E10
.long 0x82118011
.long 0xE07C1000, 0x80043C06
.long 0x8E3E8224
.long 0x80103E10
.long 0x82118011
.long 0xE07C1000, 0x80044006
.long 0x8E3E8224
.long 0x80103E10
.long 0x82118011
.long 0xE07C1000, 0x80044406
.long 0xBF800000
.long 0xD3D84008, 0x18000180
.long 0xD3D84009, 0x18000184
	;; [unrolled: 1-line block ×64, first 2 shown]
.long 0xBF800001
.long 0x923EB424
	;; [unrolled: 1-line block ×4, first 2 shown]
.long 0xE07C1000, 0x80040806
.long 0x8E3E8224
.long 0x80103E10
.long 0x82118011
.long 0xE07C1000, 0x80040C06
.long 0x8E3E8224
.long 0x80103E10
.long 0x82118011
	;; [unrolled: 4-line block ×15, first 2 shown]
.long 0xE07C1000, 0x80044406
.long 0xBF800000
.long 0xD3D84008, 0x180001C0
.long 0xD3D84009, 0x180001C4
	;; [unrolled: 1-line block ×32, first 2 shown]
.long 0xBF800001
.long 0x923EB424
	;; [unrolled: 1-line block ×4, first 2 shown]
.long 0xE07C1000, 0x80040806
.long 0x8E3E8224
.long 0x80103E10
.long 0x82118011
.long 0xE07C1000, 0x80040C06
.long 0x8E3E8224
.long 0x80103E10
.long 0x82118011
	;; [unrolled: 4-line block ×7, first 2 shown]
.long 0xE07C1000, 0x80042406
.long 0xBF800000
.long 0xBF82059D
.long 0x7E9C02FF, 0x80000000
.long 0xD0C90048, 0x00003100
.long 0xD0C9004C, 0x00003301
.long 0x86CC4C48
.long 0xD1FE0006, 0x020A0103
.long 0xD1000006, 0x01320D4E
.long 0xD1196A01, 0x00010301
.long 0xD1340002, 0x00004D02
.long 0xD1340003, 0x00004903
.long 0xD0C90048, 0x00003100
.long 0xD0C9004C, 0x00003301
.long 0x86CC4C48
.long 0xD1FE0007, 0x020A0103
.long 0xD1000007, 0x01320F4E
.long 0xD1196A01, 0x00010301
.long 0xD1340002, 0x00004D02
.long 0xD1340003, 0x00004903
.long 0xD0C90048, 0x00003100
.long 0xD0C9004C, 0x00003301
.long 0x86CC4C48
.long 0xD1FE0010, 0x020A0103
.long 0xD1000010, 0x0132214E
.long 0xD1196A01, 0x00010301
.long 0xD1340002, 0x00004D02
.long 0xD1340003, 0x00004903
.long 0xD0C90048, 0x00003100
.long 0xD0C9004C, 0x00003301
.long 0x86CC4C48
.long 0xD1FE0011, 0x020A0103
.long 0xD1000011, 0x0132234E
.long 0xD1196A01, 0x00011B01
.long 0x92488D26
.long 0xD1340002, 0x00009102
.long 0x92488D24
.long 0xD1340003, 0x00009103
.long 0xD0C90048, 0x00003100
.long 0xD0C9004C, 0x00003301
.long 0x86CC4C48
.long 0xD1FE0012, 0x020A0103
.long 0xD1000012, 0x0132254E
.long 0xD1196A01, 0x00010301
.long 0xD1340002, 0x00004D02
.long 0xD1340003, 0x00004903
.long 0xD0C90048, 0x00003100
.long 0xD0C9004C, 0x00003301
.long 0x86CC4C48
.long 0xD1FE0013, 0x020A0103
.long 0xD1000013, 0x0132274E
.long 0xD1196A01, 0x00010301
.long 0xD1340002, 0x00004D02
.long 0xD1340003, 0x00004903
.long 0xD0C90048, 0x00003100
.long 0xD0C9004C, 0x00003301
.long 0x86CC4C48
.long 0xD1FE0024, 0x020A0103
.long 0xD1000024, 0x0132494E
.long 0xD1196A01, 0x00010301
.long 0xD1340002, 0x00004D02
.long 0xD1340003, 0x00004903
.long 0xD0C90048, 0x00003100
.long 0xD0C9004C, 0x00003301
.long 0x86CC4C48
.long 0xD1FE0025, 0x020A0103
.long 0xD1000025, 0x01324B4E
.long 0xD1196A01, 0x00011B01
.long 0x92488D26
.long 0xD1340002, 0x00009102
	;; [unrolled: 34-line block ×3, first 2 shown]
.long 0x92488D24
.long 0xD1340003, 0x00009103
.long 0xD0C90048, 0x00003100
.long 0xD0C9004C, 0x00003301
.long 0x86CC4C48
.long 0xD1FE003A, 0x020A0103
.long 0xD100003A, 0x0132754E
.long 0xD1196A01, 0x00010301
.long 0xD1340002, 0x00004D02
.long 0xD1340003, 0x00004903
.long 0xD0C90048, 0x00003100
.long 0xD0C9004C, 0x00003301
.long 0x86CC4C48
.long 0xD1FE003B, 0x020A0103
.long 0xD100003B, 0x0132774E
.long 0xD1196A01, 0x00010301
.long 0xD1340002, 0x00004D02
	;; [unrolled: 8-line block ×4, first 2 shown]
.long 0xD3D8400A, 0x18000108
.long 0xD3D8400B, 0x1800010C
	;; [unrolled: 1-line block ×62, first 2 shown]
.long 0xBF800001
.long 0xE07C1000, 0x80040806
.long 0xE07C1000, 0x80040C07
	;; [unrolled: 1-line block ×16, first 2 shown]
.long 0xBF800000
.long 0x7E9C02FF, 0x80000000
.long 0xD1196A01, 0x00011B01
.long 0x92488D26
.long 0xD1340002, 0x00009102
.long 0x92488D24
.long 0xD1340003, 0x00009103
.long 0xD0C90048, 0x00003100
.long 0xD0C9004C, 0x00003301
.long 0x86CC4C48
.long 0xD1FE0006, 0x020A0103
.long 0xD1000006, 0x01320D4E
.long 0xD1196A01, 0x00010301
.long 0xD1340002, 0x00004D02
.long 0xD1340003, 0x00004903
.long 0xD0C90048, 0x00003100
.long 0xD0C9004C, 0x00003301
.long 0x86CC4C48
.long 0xD1FE0007, 0x020A0103
.long 0xD1000007, 0x01320F4E
.long 0xD1196A01, 0x00010301
.long 0xD1340002, 0x00004D02
.long 0xD1340003, 0x00004903
.long 0xD0C90048, 0x00003100
.long 0xD0C9004C, 0x00003301
.long 0x86CC4C48
.long 0xD1FE0010, 0x020A0103
.long 0xD1000010, 0x0132214E
.long 0xD1196A01, 0x00010301
.long 0xD1340002, 0x00004D02
.long 0xD1340003, 0x00004903
.long 0xD0C90048, 0x00003100
.long 0xD0C9004C, 0x00003301
.long 0x86CC4C48
.long 0xD1FE0011, 0x020A0103
.long 0xD1000011, 0x0132234E
.long 0xD1196A01, 0x00011B01
.long 0x92488D26
.long 0xD1340002, 0x00009102
.long 0x92488D24
.long 0xD1340003, 0x00009103
.long 0xD0C90048, 0x00003100
.long 0xD0C9004C, 0x00003301
.long 0x86CC4C48
.long 0xD1FE0012, 0x020A0103
.long 0xD1000012, 0x0132254E
.long 0xD1196A01, 0x00010301
.long 0xD1340002, 0x00004D02
.long 0xD1340003, 0x00004903
.long 0xD0C90048, 0x00003100
.long 0xD0C9004C, 0x00003301
.long 0x86CC4C48
.long 0xD1FE0013, 0x020A0103
.long 0xD1000013, 0x0132274E
.long 0xD1196A01, 0x00010301
.long 0xD1340002, 0x00004D02
.long 0xD1340003, 0x00004903
.long 0xD0C90048, 0x00003100
.long 0xD0C9004C, 0x00003301
.long 0x86CC4C48
.long 0xD1FE0024, 0x020A0103
.long 0xD1000024, 0x0132494E
.long 0xD1196A01, 0x00010301
.long 0xD1340002, 0x00004D02
.long 0xD1340003, 0x00004903
.long 0xD0C90048, 0x00003100
.long 0xD0C9004C, 0x00003301
.long 0x86CC4C48
.long 0xD1FE0025, 0x020A0103
	;; [unrolled: 34-line block ×4, first 2 shown]
.long 0xD100004D, 0x01329B4E
.long 0xD3D84008, 0x18000140
	;; [unrolled: 1-line block ×65, first 2 shown]
.long 0xBF800001
.long 0xE07C1000, 0x80040806
.long 0xE07C1000, 0x80040C07
	;; [unrolled: 1-line block ×16, first 2 shown]
.long 0xBF800000
.long 0x7E9C02FF, 0x80000000
.long 0xD1196A01, 0x00011B01
.long 0x92488D26
.long 0xD1340002, 0x00009102
.long 0x92488D24
.long 0xD1340003, 0x00009103
.long 0xD0C90048, 0x00003100
.long 0xD0C9004C, 0x00003301
.long 0x86CC4C48
.long 0xD1FE0006, 0x020A0103
.long 0xD1000006, 0x01320D4E
.long 0xD1196A01, 0x00010301
.long 0xD1340002, 0x00004D02
.long 0xD1340003, 0x00004903
.long 0xD0C90048, 0x00003100
.long 0xD0C9004C, 0x00003301
.long 0x86CC4C48
.long 0xD1FE0007, 0x020A0103
.long 0xD1000007, 0x01320F4E
.long 0xD1196A01, 0x00010301
.long 0xD1340002, 0x00004D02
.long 0xD1340003, 0x00004903
.long 0xD0C90048, 0x00003100
.long 0xD0C9004C, 0x00003301
.long 0x86CC4C48
.long 0xD1FE0010, 0x020A0103
.long 0xD1000010, 0x0132214E
.long 0xD1196A01, 0x00010301
.long 0xD1340002, 0x00004D02
.long 0xD1340003, 0x00004903
.long 0xD0C90048, 0x00003100
.long 0xD0C9004C, 0x00003301
.long 0x86CC4C48
.long 0xD1FE0011, 0x020A0103
.long 0xD1000011, 0x0132234E
.long 0xD1196A01, 0x00011B01
.long 0x92488D26
.long 0xD1340002, 0x00009102
.long 0x92488D24
.long 0xD1340003, 0x00009103
.long 0xD0C90048, 0x00003100
.long 0xD0C9004C, 0x00003301
.long 0x86CC4C48
.long 0xD1FE0012, 0x020A0103
.long 0xD1000012, 0x0132254E
.long 0xD1196A01, 0x00010301
.long 0xD1340002, 0x00004D02
.long 0xD1340003, 0x00004903
.long 0xD0C90048, 0x00003100
.long 0xD0C9004C, 0x00003301
.long 0x86CC4C48
.long 0xD1FE0013, 0x020A0103
.long 0xD1000013, 0x0132274E
.long 0xD1196A01, 0x00010301
.long 0xD1340002, 0x00004D02
.long 0xD1340003, 0x00004903
.long 0xD0C90048, 0x00003100
.long 0xD0C9004C, 0x00003301
.long 0x86CC4C48
.long 0xD1FE0024, 0x020A0103
.long 0xD1000024, 0x0132494E
.long 0xD1196A01, 0x00010301
.long 0xD1340002, 0x00004D02
.long 0xD1340003, 0x00004903
.long 0xD0C90048, 0x00003100
.long 0xD0C9004C, 0x00003301
.long 0x86CC4C48
.long 0xD1FE0025, 0x020A0103
	;; [unrolled: 34-line block ×4, first 2 shown]
.long 0xD100004D, 0x01329B4E
.long 0xD3D84008, 0x18000180
.long 0xD3D84009, 0x18000184
.long 0xD3D8400A, 0x18000188
.long 0xD3D8400B, 0x1800018C
.long 0xD3D8400C, 0x18000181
.long 0xD3D8400D, 0x18000185
.long 0xD3D8400E, 0x18000189
.long 0xD3D8400F, 0x1800018D
.long 0xD3D84014, 0x18000182
.long 0xD3D84015, 0x18000186
.long 0xD3D84016, 0x1800018A
.long 0xD3D84017, 0x1800018E
.long 0xD3D84018, 0x18000183
.long 0xD3D84019, 0x18000187
.long 0xD3D8401A, 0x1800018B
.long 0xD3D8401B, 0x1800018F
.long 0xD3D8401C, 0x18000190
.long 0xD3D8401D, 0x18000194
.long 0xD3D8401E, 0x18000198
.long 0xD3D8401F, 0x1800019C
.long 0xD3D84020, 0x18000191
.long 0xD3D84021, 0x18000195
.long 0xD3D84022, 0x18000199
.long 0xD3D84023, 0x1800019D
.long 0xD3D84028, 0x18000192
.long 0xD3D84029, 0x18000196
.long 0xD3D8402A, 0x1800019A
.long 0xD3D8402B, 0x1800019E
.long 0xD3D8402C, 0x18000193
.long 0xD3D8402D, 0x18000197
.long 0xD3D8402E, 0x1800019B
.long 0xD3D8402F, 0x1800019F
.long 0xD3D84030, 0x180001A0
.long 0xD3D84031, 0x180001A4
.long 0xD3D84032, 0x180001A8
.long 0xD3D84033, 0x180001AC
.long 0xD3D84034, 0x180001A1
.long 0xD3D84035, 0x180001A5
.long 0xD3D84036, 0x180001A9
.long 0xD3D84037, 0x180001AD
.long 0xD3D8403C, 0x180001A2
.long 0xD3D8403D, 0x180001A6
.long 0xD3D8403E, 0x180001AA
.long 0xD3D8403F, 0x180001AE
.long 0xD3D84040, 0x180001A3
.long 0xD3D84041, 0x180001A7
.long 0xD3D84042, 0x180001AB
.long 0xD3D84043, 0x180001AF
.long 0xD3D84044, 0x180001B0
.long 0xD3D84045, 0x180001B4
.long 0xD3D84046, 0x180001B8
.long 0xD3D84047, 0x180001BC
.long 0xD3D84048, 0x180001B1
.long 0xD3D84049, 0x180001B5
.long 0xD3D8404A, 0x180001B9
.long 0xD3D8404B, 0x180001BD
.long 0xD3D84050, 0x180001B2
.long 0xD3D84051, 0x180001B6
.long 0xD3D84052, 0x180001BA
.long 0xD3D84053, 0x180001BE
.long 0xD3D84054, 0x180001B3
.long 0xD3D84055, 0x180001B7
.long 0xD3D84056, 0x180001BB
.long 0xD3D84057, 0x180001BF
.long 0xBF800001
.long 0xE07C1000, 0x80040806
.long 0xE07C1000, 0x80040C07
	;; [unrolled: 1-line block ×16, first 2 shown]
.long 0xBF800000
.long 0x7E4C02FF, 0x80000000
.long 0xD1196A01, 0x00011B01
.long 0x92488D26
.long 0xD1340002, 0x00009102
.long 0x92488D24
.long 0xD1340003, 0x00009103
.long 0xD0C90048, 0x00003100
.long 0xD0C9004C, 0x00003301
.long 0x86CC4C48
.long 0xD1FE0006, 0x020A0103
.long 0xD1000006, 0x01320D26
.long 0xD1196A01, 0x00010301
.long 0xD1340002, 0x00004D02
.long 0xD1340003, 0x00004903
.long 0xD0C90048, 0x00003100
.long 0xD0C9004C, 0x00003301
.long 0x86CC4C48
.long 0xD1FE0007, 0x020A0103
.long 0xD1000007, 0x01320F26
.long 0xD1196A01, 0x00010301
.long 0xD1340002, 0x00004D02
	;; [unrolled: 8-line block ×3, first 2 shown]
.long 0xD1340003, 0x00004903
.long 0xD0C90048, 0x00003100
	;; [unrolled: 1-line block ×3, first 2 shown]
.long 0x86CC4C48
.long 0xD1FE0011, 0x020A0103
.long 0xD1000011, 0x01322326
	;; [unrolled: 1-line block ×3, first 2 shown]
.long 0x92488D26
.long 0xD1340002, 0x00009102
.long 0x92488D24
.long 0xD1340003, 0x00009103
.long 0xD0C90048, 0x00003100
.long 0xD0C9004C, 0x00003301
.long 0x86CC4C48
.long 0xD1FE0012, 0x020A0103
.long 0xD1000012, 0x01322526
.long 0xD1196A01, 0x00010301
.long 0xD1340002, 0x00004D02
.long 0xD1340003, 0x00004903
.long 0xD0C90048, 0x00003100
.long 0xD0C9004C, 0x00003301
.long 0x86CC4C48
.long 0xD1FE0013, 0x020A0103
.long 0xD1000013, 0x01322726
.long 0xD1196A01, 0x00010301
.long 0xD1340002, 0x00004D02
	;; [unrolled: 8-line block ×4, first 2 shown]
.long 0xD3D8400A, 0x180001C8
.long 0xD3D8400B, 0x180001CC
	;; [unrolled: 1-line block ×30, first 2 shown]
.long 0xBF800001
.long 0xE07C1000, 0x80040806
.long 0xE07C1000, 0x80040C07
	;; [unrolled: 1-line block ×8, first 2 shown]
.long 0xBF800000
.long 0xBF820000
	;; [unrolled: 1-line block ×3, first 2 shown]
.long 0x814A84FF, 0x0000F518
.long 0x80484A48
.long 0x82498049
	;; [unrolled: 1-line block ×6, first 2 shown]
.long 0xC0020158, 0x00000000
.long 0xBEAF00F2
.long 0xBF128032
	;; [unrolled: 1-line block ×3, first 2 shown]
.long 0xC0020BD9, 0x00000000
.long 0xBEC00034
.long 0xBEC10035
.long 0xBEC300FF, 0x00020000
.long 0xBF128034
.long 0xBF840002
	;; [unrolled: 1-line block ×12, first 2 shown]
.long 0xBEC700FF, 0x00020000
.long 0xBF128036
.long 0xBF840002
	;; [unrolled: 1-line block ×8, first 2 shown]
.long 0x923D02FF, 0x00000100
.long 0x6811C43D
.long 0x923D0439
	;; [unrolled: 1-line block ×4, first 2 shown]
.long 0xE0501000, 0x80110408
.long 0x2411C482
.long 0xBF8C0F70
.long 0xBF8A0000
.long 0xD81A0000, 0x00000408
.long 0xBF820012
.long 0xB4B80004
.long 0xBF850010
.long 0x92464682
.long 0x923D02FF, 0x00000100
.long 0x6811C43D
	;; [unrolled: 5-line block ×4, first 2 shown]
.long 0x7E08022C
.long 0xBF8CC07F
.long 0xD1050004, 0x00000B04
.long 0xD1050004, 0x00005F04
.long 0xBF800000
.long 0x7E580504
.long 0xB43C0001
.long 0xBF850014
.long 0xB43C0002
.long 0xBF850018
.long 0xB43C0003
.long 0xBF85001C
.long 0xB43C0004
.long 0xBF850020
.long 0xB43C0005
.long 0xBF850024
.long 0xB43C0006
.long 0xBF850028
.long 0xB43C0007
.long 0xBF85002C
.long 0xB43C0009
.long 0xBF850030
.long 0xBEBE1C00
.long 0x810584FF, 0x0000EF7C
.long 0x803E053E
.long 0x823F803F
.long 0xBF820030
.long 0xBEBE1C00
.long 0x810584FF, 0x0000EF68
.long 0x803E053E
.long 0x823F803F
.long 0xBF82002A
.long 0xBEBE1C00
	;; [unrolled: 5-line block ×9, first 2 shown]
.long 0xBF841AC7
.long 0x864A18FF, 0x000000FF
.long 0x804B0DC1
.long 0xBF094B02
	;; [unrolled: 1-line block ×6, first 2 shown]
.long 0x924C19FF, 0x00000249
.long 0x8ECC904C
.long 0x924BFF19, 0x00002493
.long 0x804C4C4B
.long 0x824D804D
	;; [unrolled: 1-line block ×4, first 2 shown]
.long 0x924CFF4B, 0x000000E0
.long 0x80CA4C19
.long 0x804B0EC1
	;; [unrolled: 1-line block ×6, first 2 shown]
.long 0x924A02FF, 0x00000100
.long 0xD135000B, 0x00009500
.long 0x24161682
.long 0xBF8CC07F
	;; [unrolled: 1-line block ×3, first 2 shown]
.long 0xD9FE0000, 0x1000000B
.long 0x24180082
.long 0xE05C1000, 0x8010140C
.long 0xD1FE0009, 0x02060103
	;; [unrolled: 1-line block ×66, first 2 shown]
.long 0xBF800001
.long 0x0A30302C
	;; [unrolled: 1-line block ×66, first 2 shown]
.long 0xD0CC0034, 0x00010042
.long 0xD1000014, 0x00D228F2
	;; [unrolled: 1-line block ×10, first 2 shown]
.long 0xBEC81E3E
.long 0x7E300304
	;; [unrolled: 1-line block ×7, first 2 shown]
.long 0xD2A00018, 0x00023318
.long 0x7E34151A
.long 0x7E36151B
.long 0xD2A00019, 0x0002371A
.long 0xE0741000, 0x80041809
	;; [unrolled: 1-line block ×12, first 2 shown]
.long 0xBEC81E3E
.long 0x7E380304
.long 0x7E3A0305
.long 0x7E3C0306
.long 0x7E3E0307
.long 0x7E38151C
.long 0x7E3A151D
.long 0xD2A0001C, 0x00023B1C
.long 0x7E3C151E
.long 0x7E3E151F
.long 0xD2A0001D, 0x00023F1E
.long 0x8E4A8124
.long 0x80104A10
.long 0x82118011
.long 0xE0741000, 0x80041C09
.long 0xD0CC0034, 0x00010042
.long 0xD1000014, 0x00D228F2
.long 0xD1000015, 0x00D22AF2
.long 0xD3B14020, 0x18024114
.long 0xD0CC0034, 0x00010042
.long 0xD1000016, 0x00D22CF2
.long 0xD1000017, 0x00D22EF2
.long 0xD3B14022, 0x18024516
.long 0xD3B24004, 0x18024110
.long 0xD3B24006, 0x18024512
.long 0xBEC81E3E
.long 0x7E400304
.long 0x7E420305
.long 0x7E440306
.long 0x7E460307
.long 0x7E401520
.long 0x7E421521
.long 0xD2A00020, 0x00024320
.long 0x7E441522
.long 0x7E461523
.long 0xD2A00021, 0x00024722
.long 0x8E4A8124
.long 0x80104A10
.long 0x82118011
.long 0xE0741000, 0x80042009
.long 0xD0CC0034, 0x00010042
.long 0xD1000014, 0x00D228F2
.long 0xD1000015, 0x00D22AF2
.long 0xD3B14024, 0x18024914
.long 0xD0CC0034, 0x00010042
.long 0xD1000016, 0x00D22CF2
.long 0xD1000017, 0x00D22EF2
.long 0xD3B14026, 0x18024D16
.long 0xD3B24004, 0x18024910
.long 0xD3B24006, 0x18024D12
	;; [unrolled: 25-line block ×14, first 2 shown]
.long 0xBEC81E3E
.long 0x7EA80304
.long 0x7EAA0305
.long 0x7EAC0306
.long 0x7EAE0307
.long 0x7EA81554
.long 0x7EAA1555
.long 0xD2A00054, 0x0002AB54
.long 0x7EAC1556
.long 0x7EAE1557
.long 0xD2A00055, 0x0002AF56
.long 0x8E4A8124
.long 0x80104A10
	;; [unrolled: 1-line block ×3, first 2 shown]
.long 0xE0741000, 0x80045409
.long 0xBF800000
.long 0x924A02FF, 0x00000100
.long 0xD135000B, 0x00009500
.long 0x24161682
.long 0xD9FE0000, 0x1000000B
.long 0xE05C1000, 0x8010140C
	;; [unrolled: 1-line block ×66, first 2 shown]
.long 0xBF800001
.long 0x0A30302C
	;; [unrolled: 1-line block ×66, first 2 shown]
.long 0xD0CC0034, 0x00010042
.long 0xD1000014, 0x00D228F2
.long 0xD1000015, 0x00D22AF2
.long 0xD3B14018, 0x18023114
.long 0xD0CC0034, 0x00010042
.long 0xD1000016, 0x00D22CF2
.long 0xD1000017, 0x00D22EF2
.long 0xD3B1401A, 0x18023516
.long 0xD3B24004, 0x18023110
.long 0xD3B24006, 0x18023512
.long 0xBEC81E3E
.long 0x7E300304
.long 0x7E320305
.long 0x7E340306
.long 0x7E360307
.long 0x7E301518
.long 0x7E321519
.long 0xD2A00018, 0x00023318
.long 0x7E34151A
.long 0x7E36151B
.long 0xD2A00019, 0x0002371A
.long 0x924A9A24
.long 0x80104A10
.long 0x82118011
.long 0xE0741000, 0x80041809
.long 0xD0CC0034, 0x00010042
.long 0xD1000014, 0x00D228F2
.long 0xD1000015, 0x00D22AF2
.long 0xD3B1401C, 0x18023914
.long 0xD0CC0034, 0x00010042
.long 0xD1000016, 0x00D22CF2
.long 0xD1000017, 0x00D22EF2
.long 0xD3B1401E, 0x18023D16
.long 0xD3B24004, 0x18023910
.long 0xD3B24006, 0x18023D12
.long 0xBEC81E3E
.long 0x7E380304
.long 0x7E3A0305
.long 0x7E3C0306
.long 0x7E3E0307
.long 0x7E38151C
.long 0x7E3A151D
.long 0xD2A0001C, 0x00023B1C
.long 0x7E3C151E
.long 0x7E3E151F
.long 0xD2A0001D, 0x00023F1E
.long 0x8E4A8124
.long 0x80104A10
.long 0x82118011
.long 0xE0741000, 0x80041C09
	;; [unrolled: 25-line block ×16, first 2 shown]
.long 0xBF800000
.long 0x924A02FF, 0x00000100
.long 0xD135000B, 0x00009500
.long 0x24161682
.long 0xD9FE0000, 0x1000000B
.long 0xE05C1000, 0x8010140C
	;; [unrolled: 1-line block ×66, first 2 shown]
.long 0xBF800001
.long 0x0A30302C
	;; [unrolled: 1-line block ×66, first 2 shown]
.long 0xD0CC0034, 0x00010042
.long 0xD1000014, 0x00D228F2
.long 0xD1000015, 0x00D22AF2
.long 0xD3B14018, 0x18023114
.long 0xD0CC0034, 0x00010042
.long 0xD1000016, 0x00D22CF2
.long 0xD1000017, 0x00D22EF2
.long 0xD3B1401A, 0x18023516
.long 0xD3B24004, 0x18023110
.long 0xD3B24006, 0x18023512
.long 0xBEC81E3E
.long 0x7E300304
.long 0x7E320305
.long 0x7E340306
.long 0x7E360307
.long 0x7E301518
.long 0x7E321519
.long 0xD2A00018, 0x00023318
.long 0x7E34151A
.long 0x7E36151B
.long 0xD2A00019, 0x0002371A
.long 0x924A9A24
.long 0x80104A10
.long 0x82118011
.long 0xE0741000, 0x80041809
.long 0xD0CC0034, 0x00010042
.long 0xD1000014, 0x00D228F2
.long 0xD1000015, 0x00D22AF2
.long 0xD3B1401C, 0x18023914
.long 0xD0CC0034, 0x00010042
.long 0xD1000016, 0x00D22CF2
.long 0xD1000017, 0x00D22EF2
.long 0xD3B1401E, 0x18023D16
.long 0xD3B24004, 0x18023910
.long 0xD3B24006, 0x18023D12
.long 0xBEC81E3E
.long 0x7E380304
.long 0x7E3A0305
.long 0x7E3C0306
.long 0x7E3E0307
.long 0x7E38151C
.long 0x7E3A151D
.long 0xD2A0001C, 0x00023B1C
.long 0x7E3C151E
.long 0x7E3E151F
.long 0xD2A0001D, 0x00023F1E
.long 0x8E4A8124
.long 0x80104A10
.long 0x82118011
.long 0xE0741000, 0x80041C09
	;; [unrolled: 25-line block ×16, first 2 shown]
.long 0xBF800000
.long 0x924A02FF, 0x00000100
.long 0xD135000B, 0x00009500
.long 0x24161682
.long 0xD9FE0000, 0x1000000B
.long 0xE05C1000, 0x8010140C
	;; [unrolled: 1-line block ×34, first 2 shown]
.long 0xBF800001
.long 0x0A30302C
	;; [unrolled: 1-line block ×34, first 2 shown]
.long 0xD0CC0034, 0x00010042
.long 0xD1000014, 0x00D228F2
.long 0xD1000015, 0x00D22AF2
.long 0xD3B14018, 0x18023114
.long 0xD0CC0034, 0x00010042
.long 0xD1000016, 0x00D22CF2
.long 0xD1000017, 0x00D22EF2
.long 0xD3B1401A, 0x18023516
.long 0xD3B24004, 0x18023110
.long 0xD3B24006, 0x18023512
.long 0xBEC81E3E
.long 0x7E300304
.long 0x7E320305
.long 0x7E340306
.long 0x7E360307
.long 0x7E301518
.long 0x7E321519
.long 0xD2A00018, 0x00023318
.long 0x7E34151A
.long 0x7E36151B
.long 0xD2A00019, 0x0002371A
.long 0x924A9A24
.long 0x80104A10
.long 0x82118011
.long 0xE0741000, 0x80041809
.long 0xD0CC0034, 0x00010042
.long 0xD1000014, 0x00D228F2
.long 0xD1000015, 0x00D22AF2
.long 0xD3B1401C, 0x18023914
.long 0xD0CC0034, 0x00010042
.long 0xD1000016, 0x00D22CF2
.long 0xD1000017, 0x00D22EF2
.long 0xD3B1401E, 0x18023D16
.long 0xD3B24004, 0x18023910
.long 0xD3B24006, 0x18023D12
.long 0xBEC81E3E
.long 0x7E380304
.long 0x7E3A0305
.long 0x7E3C0306
.long 0x7E3E0307
.long 0x7E38151C
.long 0x7E3A151D
.long 0xD2A0001C, 0x00023B1C
.long 0x7E3C151E
.long 0x7E3E151F
.long 0xD2A0001D, 0x00023F1E
.long 0x8E4A8124
.long 0x80104A10
.long 0x82118011
.long 0xE0741000, 0x80041C09
	;; [unrolled: 25-line block ×8, first 2 shown]
.long 0xBF800000
.long 0xBF823172
.long 0x7EDE02FF, 0x80000000
.long 0xD0C9004A, 0x00003100
	;; [unrolled: 1-line block ×3, first 2 shown]
.long 0x86CE4E4A
.long 0x924A02FF, 0x00000100
.long 0xD135000A, 0x00009500
.long 0x24141482
.long 0xD100000A, 0x013A156F
.long 0xBF8CC07F
.long 0xBF8A0000
.long 0xD9FE0000, 0x0C00000A
.long 0x24160082
.long 0xE05C1000, 0x8010100B
.long 0xD1FE0009, 0x02060103
	;; [unrolled: 1-line block ×8, first 2 shown]
.long 0x86CE4E4A
.long 0x924A02FF, 0x00000100
.long 0xD1350019, 0x00009500
.long 0x24323282
.long 0xD1000019, 0x013A336F
.long 0x24340082
.long 0xD1FE0018, 0x02060103
.long 0xD1000018, 0x013A316F
.long 0xD1196A01, 0x00010301
.long 0xD1340002, 0x00004D02
.long 0xD1340003, 0x00004903
.long 0xD0C9004A, 0x00003100
.long 0xD0C9004E, 0x00003301
.long 0x86CE4E4A
.long 0x924A02FF, 0x00000100
.long 0xD1350020, 0x00009500
.long 0x24404082
.long 0xD1000020, 0x013A416F
.long 0x24420082
.long 0xD1FE001B, 0x02060103
.long 0xD100001B, 0x013A376F
.long 0xD1196A01, 0x00010301
.long 0xD1340002, 0x00004D02
.long 0xD1340003, 0x00004903
.long 0xD0C9004A, 0x00003100
.long 0xD0C9004E, 0x00003301
.long 0x86CE4E4A
.long 0x924A02FF, 0x00000100
.long 0xD1350023, 0x00009500
.long 0x24464682
.long 0xD1000023, 0x013A476F
.long 0x24500082
.long 0xD1FE0022, 0x02060103
.long 0xD1000022, 0x013A456F
.long 0xD1196A01, 0x00011B01
.long 0x924A8D26
.long 0xD1340002, 0x00009502
.long 0x924A8D24
.long 0xD1340003, 0x00009503
.long 0xD0C9004A, 0x00003100
.long 0xD0C9004E, 0x00003301
.long 0x86CE4E4A
.long 0x924A02FF, 0x00000100
.long 0xD135002A, 0x00009500
.long 0x24545482
.long 0xD100002A, 0x013A556F
.long 0x24560082
.long 0xD1FE0029, 0x02060103
.long 0xD1000029, 0x013A536F
.long 0xD1196A01, 0x00010301
.long 0xD1340002, 0x00004D02
.long 0xD1340003, 0x00004903
.long 0xD0C9004A, 0x00003100
.long 0xD0C9004E, 0x00003301
.long 0x86CE4E4A
.long 0x924A02FF, 0x00000100
.long 0xD1350035, 0x00009500
.long 0x246A6A82
.long 0xD1000035, 0x013A6B6F
.long 0x246C0082
.long 0xD1FE0034, 0x02060103
.long 0xD1000034, 0x013A696F
.long 0xD1196A01, 0x00010301
.long 0xD1340002, 0x00004D02
.long 0xD1340003, 0x00004903
.long 0xD0C9004A, 0x00003100
.long 0xD0C9004E, 0x00003301
.long 0x86CE4E4A
.long 0x924A02FF, 0x00000100
.long 0xD135003C, 0x00009500
.long 0x24787882
.long 0xD100003C, 0x013A796F
.long 0x247A0082
.long 0xD1FE0037, 0x02060103
.long 0xD1000037, 0x013A6F6F
.long 0xD1196A01, 0x00010301
.long 0xD1340002, 0x00004D02
.long 0xD1340003, 0x00004903
.long 0xD0C9004A, 0x00003100
.long 0xD0C9004E, 0x00003301
.long 0x86CE4E4A
.long 0x924A02FF, 0x00000100
.long 0xD135003F, 0x00009500
.long 0x247E7E82
.long 0xD100003F, 0x013A7F6F
.long 0x24880082
.long 0xD1FE003E, 0x02060103
.long 0xD100003E, 0x013A7D6F
.long 0xD1196A01, 0x00011B01
.long 0x924A8D26
.long 0xD1340002, 0x00009502
.long 0x924A8D24
.long 0xD1340003, 0x00009503
.long 0xD0C9004A, 0x00003100
.long 0xD0C9004E, 0x00003301
.long 0x86CE4E4A
.long 0x924A02FF, 0x00000100
.long 0xD1350046, 0x00009500
.long 0x248C8C82
.long 0xD1000046, 0x013A8D6F
.long 0x248E0082
.long 0xD1FE0045, 0x02060103
.long 0xD1000045, 0x013A8B6F
.long 0xD1196A01, 0x00010301
.long 0xD1340002, 0x00004D02
.long 0xD1340003, 0x00004903
.long 0xD0C9004A, 0x00003100
.long 0xD0C9004E, 0x00003301
	;; [unrolled: 54-line block ×3, first 2 shown]
.long 0x86CE4E4A
.long 0x924A02FF, 0x00000100
.long 0xD135006D, 0x00009500
.long 0x24DADA82
.long 0xD100006D, 0x013ADB6F
.long 0x24DC0082
.long 0xD1FE006C, 0x02060103
.long 0xD100006C, 0x013AD96F
	;; [unrolled: 1-line block ×58, first 2 shown]
.long 0xBF800001
.long 0x0A28282C
	;; [unrolled: 1-line block ×58, first 2 shown]
.long 0xD0CC0034, 0x00010042
.long 0xD1000010, 0x00D220F2
.long 0xD1000011, 0x00D222F2
.long 0xD3B14014, 0x18022910
.long 0xD0CC0034, 0x00010042
.long 0xD1000012, 0x00D224F2
.long 0xD1000013, 0x00D226F2
.long 0xD3B14016, 0x18022D12
.long 0xD3B24004, 0x1802290C
.long 0xD3B24006, 0x18022D0E
.long 0xBEC81E3E
.long 0x7E280304
.long 0x7E2A0305
.long 0x7E2C0306
.long 0x7E2E0307
.long 0x7E281514
.long 0x7E2A1515
.long 0xD2A00014, 0x00022B14
.long 0x7E2C1516
.long 0x7E2E1517
.long 0xD2A00015, 0x00022F16
.long 0xE0741000, 0x80041409
.long 0xD0CC0034, 0x00010042
.long 0xD1000010, 0x00D220F2
.long 0xD1000011, 0x00D222F2
.long 0xD3B1401C, 0x18023910
.long 0xD0CC0034, 0x00010042
.long 0xD1000012, 0x00D224F2
.long 0xD1000013, 0x00D226F2
.long 0xD3B1401E, 0x18023D12
.long 0xD3B24004, 0x1802390C
.long 0xD3B24006, 0x18023D0E
.long 0xBEC81E3E
.long 0x7E380304
.long 0x7E3A0305
.long 0x7E3C0306
.long 0x7E3E0307
.long 0x7E38151C
.long 0x7E3A151D
.long 0xD2A0001C, 0x00023B1C
.long 0x7E3C151E
.long 0x7E3E151F
.long 0xD2A0001D, 0x00023F1E
.long 0xE0741000, 0x80041C18
	;; [unrolled: 22-line block ×14, first 2 shown]
.long 0xBF800000
.long 0x7EDE02FF, 0x80000000
.long 0xD1196A01, 0x00010301
	;; [unrolled: 1-line block ×6, first 2 shown]
.long 0x86CE4E4A
.long 0x924A02FF, 0x00000100
.long 0xD135000A, 0x00009500
.long 0x24141482
.long 0xD100000A, 0x013A156F
.long 0xD9FE0000, 0x0C00000A
	;; [unrolled: 3-line block ×3, first 2 shown]
.long 0xD1000009, 0x013A136F
.long 0xD1196A01, 0x00010301
.long 0xD1340002, 0x00004D02
.long 0xD1340003, 0x00004903
.long 0xD0C9004A, 0x00003100
.long 0xD0C9004E, 0x00003301
.long 0x86CE4E4A
.long 0x924A02FF, 0x00000100
.long 0xD1350019, 0x00009500
.long 0x24323282
.long 0xD1000019, 0x013A336F
.long 0x24340082
.long 0xD1FE0018, 0x02060103
.long 0xD1000018, 0x013A316F
.long 0xD1196A01, 0x00011B01
.long 0x924A8D26
.long 0xD1340002, 0x00009502
.long 0x924A8D24
.long 0xD1340003, 0x00009503
.long 0xD0C9004A, 0x00003100
.long 0xD0C9004E, 0x00003301
.long 0x86CE4E4A
.long 0x924A02FF, 0x00000100
.long 0xD1350020, 0x00009500
.long 0x24404082
.long 0xD1000020, 0x013A416F
.long 0x24420082
.long 0xD1FE001B, 0x02060103
.long 0xD100001B, 0x013A376F
.long 0xD1196A01, 0x00010301
.long 0xD1340002, 0x00004D02
.long 0xD1340003, 0x00004903
.long 0xD0C9004A, 0x00003100
.long 0xD0C9004E, 0x00003301
.long 0x86CE4E4A
.long 0x924A02FF, 0x00000100
.long 0xD1350023, 0x00009500
.long 0x24464682
.long 0xD1000023, 0x013A476F
.long 0x24500082
.long 0xD1FE0022, 0x02060103
.long 0xD1000022, 0x013A456F
.long 0xD1196A01, 0x00010301
.long 0xD1340002, 0x00004D02
.long 0xD1340003, 0x00004903
.long 0xD0C9004A, 0x00003100
.long 0xD0C9004E, 0x00003301
.long 0x86CE4E4A
.long 0x924A02FF, 0x00000100
.long 0xD135002A, 0x00009500
.long 0x24545482
.long 0xD100002A, 0x013A556F
.long 0x24560082
.long 0xD1FE0029, 0x02060103
.long 0xD1000029, 0x013A536F
.long 0xD1196A01, 0x00010301
.long 0xD1340002, 0x00004D02
.long 0xD1340003, 0x00004903
.long 0xD0C9004A, 0x00003100
.long 0xD0C9004E, 0x00003301
.long 0x86CE4E4A
.long 0x924A02FF, 0x00000100
.long 0xD1350035, 0x00009500
.long 0x246A6A82
.long 0xD1000035, 0x013A6B6F
.long 0x246C0082
.long 0xD1FE0034, 0x02060103
.long 0xD1000034, 0x013A696F
.long 0xD1196A01, 0x00011B01
.long 0x924A8D26
.long 0xD1340002, 0x00009502
.long 0x924A8D24
.long 0xD1340003, 0x00009503
.long 0xD0C9004A, 0x00003100
.long 0xD0C9004E, 0x00003301
.long 0x86CE4E4A
.long 0x924A02FF, 0x00000100
.long 0xD135003C, 0x00009500
.long 0x24787882
.long 0xD100003C, 0x013A796F
.long 0x247A0082
.long 0xD1FE0037, 0x02060103
.long 0xD1000037, 0x013A6F6F
.long 0xD1196A01, 0x00010301
.long 0xD1340002, 0x00004D02
.long 0xD1340003, 0x00004903
.long 0xD0C9004A, 0x00003100
.long 0xD0C9004E, 0x00003301
.long 0x86CE4E4A
.long 0x924A02FF, 0x00000100
.long 0xD135003F, 0x00009500
.long 0x247E7E82
.long 0xD100003F, 0x013A7F6F
.long 0x24880082
.long 0xD1FE003E, 0x02060103
.long 0xD100003E, 0x013A7D6F
.long 0xD1196A01, 0x00010301
.long 0xD1340002, 0x00004D02
.long 0xD1340003, 0x00004903
.long 0xD0C9004A, 0x00003100
.long 0xD0C9004E, 0x00003301
.long 0x86CE4E4A
.long 0x924A02FF, 0x00000100
.long 0xD1350046, 0x00009500
.long 0x248C8C82
.long 0xD1000046, 0x013A8D6F
.long 0x248E0082
.long 0xD1FE0045, 0x02060103
	;; [unrolled: 54-line block ×3, first 2 shown]
.long 0xD1000061, 0x013AC36F
.long 0xD1196A01, 0x00010301
	;; [unrolled: 1-line block ×6, first 2 shown]
.long 0x86CE4E4A
.long 0x924A02FF, 0x00000100
.long 0xD135006D, 0x00009500
.long 0x24DADA82
.long 0xD100006D, 0x013ADB6F
.long 0x24DC0082
.long 0xD1FE006C, 0x02060103
.long 0xD100006C, 0x013AD96F
	;; [unrolled: 1-line block ×58, first 2 shown]
.long 0xBF800001
.long 0x0A28282C
	;; [unrolled: 1-line block ×58, first 2 shown]
.long 0xD0CC0034, 0x00010042
.long 0xD1000010, 0x00D220F2
.long 0xD1000011, 0x00D222F2
.long 0xD3B14014, 0x18022910
.long 0xD0CC0034, 0x00010042
.long 0xD1000012, 0x00D224F2
.long 0xD1000013, 0x00D226F2
.long 0xD3B14016, 0x18022D12
.long 0xD3B24004, 0x1802290C
.long 0xD3B24006, 0x18022D0E
.long 0xBEC81E3E
.long 0x7E280304
.long 0x7E2A0305
.long 0x7E2C0306
.long 0x7E2E0307
.long 0x7E281514
.long 0x7E2A1515
.long 0xD2A00014, 0x00022B14
.long 0x7E2C1516
.long 0x7E2E1517
.long 0xD2A00015, 0x00022F16
.long 0xE0741000, 0x80041409
.long 0xD0CC0034, 0x00010042
.long 0xD1000010, 0x00D220F2
.long 0xD1000011, 0x00D222F2
.long 0xD3B1401C, 0x18023910
.long 0xD0CC0034, 0x00010042
.long 0xD1000012, 0x00D224F2
.long 0xD1000013, 0x00D226F2
.long 0xD3B1401E, 0x18023D12
.long 0xD3B24004, 0x1802390C
.long 0xD3B24006, 0x18023D0E
.long 0xBEC81E3E
.long 0x7E380304
.long 0x7E3A0305
.long 0x7E3C0306
.long 0x7E3E0307
.long 0x7E38151C
.long 0x7E3A151D
.long 0xD2A0001C, 0x00023B1C
.long 0x7E3C151E
.long 0x7E3E151F
.long 0xD2A0001D, 0x00023F1E
.long 0xE0741000, 0x80041C18
	;; [unrolled: 22-line block ×14, first 2 shown]
.long 0xBF800000
.long 0x7EDE02FF, 0x80000000
.long 0xD1196A01, 0x00011B01
.long 0x924A8D26
.long 0xD1340002, 0x00009502
.long 0x924A8D24
.long 0xD1340003, 0x00009503
.long 0xD0C9004A, 0x00003100
	;; [unrolled: 1-line block ×3, first 2 shown]
.long 0x86CE4E4A
.long 0x924A02FF, 0x00000100
.long 0xD135000A, 0x00009500
.long 0x24141482
.long 0xD100000A, 0x013A156F
.long 0xD9FE0000, 0x0C00000A
	;; [unrolled: 3-line block ×3, first 2 shown]
.long 0xD1000009, 0x013A136F
.long 0xD1196A01, 0x00010301
.long 0xD1340002, 0x00004D02
.long 0xD1340003, 0x00004903
.long 0xD0C9004A, 0x00003100
.long 0xD0C9004E, 0x00003301
.long 0x86CE4E4A
.long 0x924A02FF, 0x00000100
.long 0xD1350019, 0x00009500
.long 0x24323282
.long 0xD1000019, 0x013A336F
.long 0x24340082
.long 0xD1FE0018, 0x02060103
.long 0xD1000018, 0x013A316F
.long 0xD1196A01, 0x00010301
.long 0xD1340002, 0x00004D02
.long 0xD1340003, 0x00004903
.long 0xD0C9004A, 0x00003100
.long 0xD0C9004E, 0x00003301
.long 0x86CE4E4A
.long 0x924A02FF, 0x00000100
.long 0xD1350020, 0x00009500
.long 0x24404082
.long 0xD1000020, 0x013A416F
.long 0x24420082
.long 0xD1FE001B, 0x02060103
.long 0xD100001B, 0x013A376F
.long 0xD1196A01, 0x00010301
.long 0xD1340002, 0x00004D02
.long 0xD1340003, 0x00004903
.long 0xD0C9004A, 0x00003100
.long 0xD0C9004E, 0x00003301
.long 0x86CE4E4A
.long 0x924A02FF, 0x00000100
.long 0xD1350023, 0x00009500
.long 0x24464682
.long 0xD1000023, 0x013A476F
.long 0x24500082
.long 0xD1FE0022, 0x02060103
.long 0xD1000022, 0x013A456F
.long 0xD1196A01, 0x00011B01
.long 0x924A8D26
.long 0xD1340002, 0x00009502
.long 0x924A8D24
.long 0xD1340003, 0x00009503
.long 0xD0C9004A, 0x00003100
.long 0xD0C9004E, 0x00003301
.long 0x86CE4E4A
.long 0x924A02FF, 0x00000100
.long 0xD135002A, 0x00009500
.long 0x24545482
.long 0xD100002A, 0x013A556F
.long 0x24560082
.long 0xD1FE0029, 0x02060103
.long 0xD1000029, 0x013A536F
.long 0xD1196A01, 0x00010301
.long 0xD1340002, 0x00004D02
.long 0xD1340003, 0x00004903
.long 0xD0C9004A, 0x00003100
.long 0xD0C9004E, 0x00003301
.long 0x86CE4E4A
.long 0x924A02FF, 0x00000100
.long 0xD1350035, 0x00009500
.long 0x246A6A82
.long 0xD1000035, 0x013A6B6F
.long 0x246C0082
.long 0xD1FE0034, 0x02060103
.long 0xD1000034, 0x013A696F
.long 0xD1196A01, 0x00010301
.long 0xD1340002, 0x00004D02
.long 0xD1340003, 0x00004903
.long 0xD0C9004A, 0x00003100
.long 0xD0C9004E, 0x00003301
.long 0x86CE4E4A
.long 0x924A02FF, 0x00000100
.long 0xD135003C, 0x00009500
.long 0x24787882
.long 0xD100003C, 0x013A796F
.long 0x247A0082
.long 0xD1FE0037, 0x02060103
.long 0xD1000037, 0x013A6F6F
.long 0xD1196A01, 0x00010301
.long 0xD1340002, 0x00004D02
.long 0xD1340003, 0x00004903
.long 0xD0C9004A, 0x00003100
.long 0xD0C9004E, 0x00003301
.long 0x86CE4E4A
.long 0x924A02FF, 0x00000100
.long 0xD135003F, 0x00009500
.long 0x247E7E82
.long 0xD100003F, 0x013A7F6F
.long 0x24880082
.long 0xD1FE003E, 0x02060103
.long 0xD100003E, 0x013A7D6F
.long 0xD1196A01, 0x00011B01
.long 0x924A8D26
.long 0xD1340002, 0x00009502
.long 0x924A8D24
.long 0xD1340003, 0x00009503
.long 0xD0C9004A, 0x00003100
.long 0xD0C9004E, 0x00003301
.long 0x86CE4E4A
.long 0x924A02FF, 0x00000100
.long 0xD1350046, 0x00009500
.long 0x248C8C82
.long 0xD1000046, 0x013A8D6F
.long 0x248E0082
.long 0xD1FE0045, 0x02060103
	;; [unrolled: 54-line block ×3, first 2 shown]
.long 0xD1000061, 0x013AC36F
.long 0xD1196A01, 0x00010301
	;; [unrolled: 1-line block ×6, first 2 shown]
.long 0x86CE4E4A
.long 0x924A02FF, 0x00000100
.long 0xD135006D, 0x00009500
.long 0x24DADA82
.long 0xD100006D, 0x013ADB6F
.long 0x24DC0082
.long 0xD1FE006C, 0x02060103
.long 0xD100006C, 0x013AD96F
	;; [unrolled: 1-line block ×58, first 2 shown]
.long 0xBF800001
.long 0x0A28282C
	;; [unrolled: 1-line block ×58, first 2 shown]
.long 0xD0CC0034, 0x00010042
.long 0xD1000010, 0x00D220F2
.long 0xD1000011, 0x00D222F2
.long 0xD3B14014, 0x18022910
.long 0xD0CC0034, 0x00010042
.long 0xD1000012, 0x00D224F2
.long 0xD1000013, 0x00D226F2
.long 0xD3B14016, 0x18022D12
.long 0xD3B24004, 0x1802290C
.long 0xD3B24006, 0x18022D0E
.long 0xBEC81E3E
.long 0x7E280304
.long 0x7E2A0305
.long 0x7E2C0306
.long 0x7E2E0307
.long 0x7E281514
.long 0x7E2A1515
.long 0xD2A00014, 0x00022B14
.long 0x7E2C1516
.long 0x7E2E1517
.long 0xD2A00015, 0x00022F16
.long 0xE0741000, 0x80041409
.long 0xD0CC0034, 0x00010042
.long 0xD1000010, 0x00D220F2
.long 0xD1000011, 0x00D222F2
.long 0xD3B1401C, 0x18023910
.long 0xD0CC0034, 0x00010042
.long 0xD1000012, 0x00D224F2
.long 0xD1000013, 0x00D226F2
.long 0xD3B1401E, 0x18023D12
.long 0xD3B24004, 0x1802390C
.long 0xD3B24006, 0x18023D0E
.long 0xBEC81E3E
.long 0x7E380304
.long 0x7E3A0305
.long 0x7E3C0306
.long 0x7E3E0307
.long 0x7E38151C
.long 0x7E3A151D
.long 0xD2A0001C, 0x00023B1C
.long 0x7E3C151E
.long 0x7E3E151F
.long 0xD2A0001D, 0x00023F1E
.long 0xE0741000, 0x80041C18
	;; [unrolled: 22-line block ×14, first 2 shown]
.long 0xBF800000
.long 0x7EDE02FF, 0x80000000
.long 0xD1196A01, 0x00010301
	;; [unrolled: 1-line block ×6, first 2 shown]
.long 0x86CE4E4A
.long 0x924A02FF, 0x00000100
.long 0xD135000A, 0x00009500
.long 0x24141482
.long 0xD100000A, 0x013A156F
.long 0xD9FE0000, 0x0C00000A
	;; [unrolled: 3-line block ×3, first 2 shown]
.long 0xD1000009, 0x013A136F
.long 0xD1196A01, 0x00010301
.long 0xD1340002, 0x00004D02
.long 0xD1340003, 0x00004903
.long 0xD0C9004A, 0x00003100
.long 0xD0C9004E, 0x00003301
.long 0x86CE4E4A
.long 0x924A02FF, 0x00000100
.long 0xD1350019, 0x00009500
.long 0x24323282
.long 0xD1000019, 0x013A336F
.long 0x24340082
.long 0xD1FE0018, 0x02060103
.long 0xD1000018, 0x013A316F
.long 0xD1196A01, 0x00011B01
.long 0x924A8D26
.long 0xD1340002, 0x00009502
.long 0x924A8D24
.long 0xD1340003, 0x00009503
.long 0xD0C9004A, 0x00003100
.long 0xD0C9004E, 0x00003301
.long 0x86CE4E4A
.long 0x924A02FF, 0x00000100
.long 0xD1350020, 0x00009500
.long 0x24404082
.long 0xD1000020, 0x013A416F
.long 0x24420082
.long 0xD1FE001B, 0x02060103
.long 0xD100001B, 0x013A376F
.long 0xD1196A01, 0x00010301
.long 0xD1340002, 0x00004D02
.long 0xD1340003, 0x00004903
.long 0xD0C9004A, 0x00003100
.long 0xD0C9004E, 0x00003301
.long 0x86CE4E4A
.long 0x924A02FF, 0x00000100
.long 0xD1350023, 0x00009500
.long 0x24464682
.long 0xD1000023, 0x013A476F
.long 0x24500082
.long 0xD1FE0022, 0x02060103
.long 0xD1000022, 0x013A456F
.long 0xD1196A01, 0x00010301
.long 0xD1340002, 0x00004D02
.long 0xD1340003, 0x00004903
.long 0xD0C9004A, 0x00003100
.long 0xD0C9004E, 0x00003301
.long 0x86CE4E4A
.long 0x924A02FF, 0x00000100
.long 0xD135002A, 0x00009500
.long 0x24545482
.long 0xD100002A, 0x013A556F
.long 0x24560082
.long 0xD1FE0029, 0x02060103
.long 0xD1000029, 0x013A536F
.long 0xD1196A01, 0x00010301
.long 0xD1340002, 0x00004D02
.long 0xD1340003, 0x00004903
.long 0xD0C9004A, 0x00003100
.long 0xD0C9004E, 0x00003301
.long 0x86CE4E4A
.long 0x924A02FF, 0x00000100
.long 0xD1350035, 0x00009500
.long 0x246A6A82
.long 0xD1000035, 0x013A6B6F
.long 0x246C0082
.long 0xD1FE0034, 0x02060103
.long 0xD1000034, 0x013A696F
.long 0xD1196A01, 0x00011B01
.long 0x924A8D26
.long 0xD1340002, 0x00009502
.long 0x924A8D24
.long 0xD1340003, 0x00009503
.long 0xD0C9004A, 0x00003100
.long 0xD0C9004E, 0x00003301
.long 0x86CE4E4A
.long 0x924A02FF, 0x00000100
.long 0xD135003C, 0x00009500
.long 0x24787882
.long 0xD100003C, 0x013A796F
.long 0x247A0082
.long 0xD1FE0037, 0x02060103
.long 0xD1000037, 0x013A6F6F
.long 0xD1196A01, 0x00010301
.long 0xD1340002, 0x00004D02
.long 0xD1340003, 0x00004903
.long 0xD0C9004A, 0x00003100
.long 0xD0C9004E, 0x00003301
.long 0x86CE4E4A
.long 0x924A02FF, 0x00000100
.long 0xD135003F, 0x00009500
.long 0x247E7E82
.long 0xD100003F, 0x013A7F6F
.long 0x24880082
.long 0xD1FE003E, 0x02060103
.long 0xD100003E, 0x013A7D6F
.long 0xD1196A01, 0x00010301
.long 0xD1340002, 0x00004D02
.long 0xD1340003, 0x00004903
.long 0xD0C9004A, 0x00003100
.long 0xD0C9004E, 0x00003301
.long 0x86CE4E4A
.long 0x924A02FF, 0x00000100
.long 0xD1350046, 0x00009500
.long 0x248C8C82
.long 0xD1000046, 0x013A8D6F
.long 0x248E0082
.long 0xD1FE0045, 0x02060103
	;; [unrolled: 54-line block ×3, first 2 shown]
.long 0xD1000061, 0x013AC36F
.long 0xD1196A01, 0x00010301
	;; [unrolled: 1-line block ×6, first 2 shown]
.long 0x86CE4E4A
.long 0x924A02FF, 0x00000100
.long 0xD135006D, 0x00009500
.long 0x24DADA82
.long 0xD100006D, 0x013ADB6F
.long 0x24DC0082
.long 0xD1FE006C, 0x02060103
.long 0xD100006C, 0x013AD96F
	;; [unrolled: 1-line block ×58, first 2 shown]
.long 0xBF800001
.long 0x0A28282C
	;; [unrolled: 1-line block ×58, first 2 shown]
.long 0xD0CC0034, 0x00010042
.long 0xD1000010, 0x00D220F2
.long 0xD1000011, 0x00D222F2
.long 0xD3B14014, 0x18022910
.long 0xD0CC0034, 0x00010042
.long 0xD1000012, 0x00D224F2
.long 0xD1000013, 0x00D226F2
.long 0xD3B14016, 0x18022D12
.long 0xD3B24004, 0x1802290C
.long 0xD3B24006, 0x18022D0E
.long 0xBEC81E3E
.long 0x7E280304
.long 0x7E2A0305
.long 0x7E2C0306
.long 0x7E2E0307
.long 0x7E281514
.long 0x7E2A1515
.long 0xD2A00014, 0x00022B14
.long 0x7E2C1516
.long 0x7E2E1517
.long 0xD2A00015, 0x00022F16
.long 0xE0741000, 0x80041409
.long 0xD0CC0034, 0x00010042
.long 0xD1000010, 0x00D220F2
.long 0xD1000011, 0x00D222F2
.long 0xD3B1401C, 0x18023910
.long 0xD0CC0034, 0x00010042
.long 0xD1000012, 0x00D224F2
.long 0xD1000013, 0x00D226F2
.long 0xD3B1401E, 0x18023D12
.long 0xD3B24004, 0x1802390C
.long 0xD3B24006, 0x18023D0E
.long 0xBEC81E3E
.long 0x7E380304
.long 0x7E3A0305
.long 0x7E3C0306
.long 0x7E3E0307
.long 0x7E38151C
.long 0x7E3A151D
.long 0xD2A0001C, 0x00023B1C
.long 0x7E3C151E
.long 0x7E3E151F
.long 0xD2A0001D, 0x00023F1E
.long 0xE0741000, 0x80041C18
	;; [unrolled: 22-line block ×14, first 2 shown]
.long 0xBF800000
.long 0xBF8221E7
.long 0x864A18FF, 0x000000FF
.long 0x804B0DC1
.long 0xBF094B02
	;; [unrolled: 1-line block ×6, first 2 shown]
.long 0x924C19FF, 0x00000249
.long 0x8ECC904C
.long 0x924BFF19, 0x00002493
.long 0x804C4C4B
.long 0x824D804D
	;; [unrolled: 1-line block ×4, first 2 shown]
.long 0x924CFF4B, 0x000000E0
.long 0x80CA4C19
.long 0x804B0EC1
	;; [unrolled: 1-line block ×6, first 2 shown]
.long 0xD1FE000A, 0x02060102
.long 0xE0541000, 0x80050E0A
	;; [unrolled: 1-line block ×4, first 2 shown]
.long 0x24161682
.long 0xBF8CC07F
	;; [unrolled: 1-line block ×3, first 2 shown]
.long 0xD9FE0000, 0x1000000B
.long 0x24180082
.long 0xE05C1000, 0x8010140C
.long 0x8E4A8126
.long 0x80144A14
.long 0x82158015
.long 0xE0541000, 0x80051C0A
.long 0x8E4A8126
.long 0x80144A14
	;; [unrolled: 4-line block ×15, first 2 shown]
.long 0x82158015
.long 0xE0541000, 0x8005700A
.long 0xD1FE0009, 0x02060103
	;; [unrolled: 1-line block ×66, first 2 shown]
.long 0xBF800001
.long 0x0A30302C
	;; [unrolled: 1-line block ×66, first 2 shown]
.long 0xD0CC0034, 0x00010042
.long 0xD1000014, 0x00D228F2
	;; [unrolled: 1-line block ×14, first 2 shown]
.long 0xBEC81E3E
.long 0x7E300304
	;; [unrolled: 1-line block ×7, first 2 shown]
.long 0xD2A00018, 0x00023318
.long 0x7E34151A
.long 0x7E36151B
.long 0xD2A00019, 0x0002371A
.long 0xE0741000, 0x80041809
.long 0xBF8C0F7F
.long 0xD0CC0034, 0x00010042
.long 0xD1000014, 0x00D228F2
.long 0xD1000015, 0x00D22AF2
.long 0xD3B14020, 0x18024114
.long 0xD0CC0034, 0x00010042
.long 0xD1000016, 0x00D22CF2
.long 0xD1000017, 0x00D22EF2
.long 0xD3B14022, 0x18024516
.long 0xD3A00020, 0x1482382D
.long 0xD3A01021, 0x1486382D
.long 0xD3A00022, 0x148A3A2D
.long 0xD3A01023, 0x148E3A2D
.long 0xD3B24004, 0x18024110
.long 0xD3B24006, 0x18024512
.long 0xBEC81E3E
.long 0x7E400304
.long 0x7E420305
.long 0x7E440306
.long 0x7E460307
.long 0x7E401520
.long 0x7E421521
.long 0xD2A00020, 0x00024320
.long 0x7E441522
.long 0x7E461523
.long 0xD2A00021, 0x00024722
.long 0x8E4A8124
.long 0x80104A10
.long 0x82118011
.long 0xE0741000, 0x80042009
.long 0xBF8C0F7F
.long 0xD0CC0034, 0x00010042
.long 0xD1000014, 0x00D228F2
.long 0xD1000015, 0x00D22AF2
.long 0xD3B14024, 0x18024914
.long 0xD0CC0034, 0x00010042
.long 0xD1000016, 0x00D22CF2
.long 0xD1000017, 0x00D22EF2
.long 0xD3B14026, 0x18024D16
.long 0xD3A00024, 0x14923C2D
.long 0xD3A01025, 0x14963C2D
.long 0xD3A00026, 0x149A3E2D
.long 0xD3A01027, 0x149E3E2D
.long 0xD3B24004, 0x18024910
.long 0xD3B24006, 0x18024D12
.long 0xBEC81E3E
.long 0x7E480304
.long 0x7E4A0305
.long 0x7E4C0306
.long 0x7E4E0307
.long 0x7E481524
.long 0x7E4A1525
.long 0xD2A00024, 0x00024B24
.long 0x7E4C1526
.long 0x7E4E1527
.long 0xD2A00025, 0x00024F26
.long 0x8E4A8124
.long 0x80104A10
.long 0x82118011
	;; [unrolled: 30-line block ×15, first 2 shown]
.long 0xE0741000, 0x80047409
.long 0xBF800000
.long 0x924A9A26
	;; [unrolled: 1-line block ×4, first 2 shown]
.long 0xE0541000, 0x80050E0A
.long 0x924A02FF, 0x00000100
	;; [unrolled: 1-line block ×3, first 2 shown]
.long 0x24161682
.long 0xD9FE0000, 0x1000000B
.long 0xE05C1000, 0x8010140C
.long 0x8E4A8126
.long 0x80144A14
.long 0x82158015
.long 0xE0541000, 0x80051C0A
.long 0x8E4A8126
.long 0x80144A14
.long 0x82158015
	;; [unrolled: 4-line block ×15, first 2 shown]
.long 0xE0541000, 0x8005700A
.long 0xD3D84018, 0x18000140
.long 0xD3D84019, 0x18000144
.long 0xD3D8401A, 0x18000148
.long 0xD3D8401B, 0x1800014C
.long 0xD3D84020, 0x18000141
.long 0xD3D84021, 0x18000145
.long 0xD3D84022, 0x18000149
.long 0xD3D84023, 0x1800014D
.long 0xD3D84024, 0x18000142
.long 0xD3D84025, 0x18000146
.long 0xD3D84026, 0x1800014A
.long 0xD3D84027, 0x1800014E
.long 0xD3D8402C, 0x18000143
.long 0xD3D8402D, 0x18000147
.long 0xD3D8402E, 0x1800014B
.long 0xD3D8402F, 0x1800014F
.long 0xD3D84030, 0x18000150
.long 0xD3D84031, 0x18000154
.long 0xD3D84032, 0x18000158
.long 0xD3D84033, 0x1800015C
.long 0xD3D84038, 0x18000151
.long 0xD3D84039, 0x18000155
.long 0xD3D8403A, 0x18000159
.long 0xD3D8403B, 0x1800015D
.long 0xD3D8403C, 0x18000152
.long 0xD3D8403D, 0x18000156
.long 0xD3D8403E, 0x1800015A
.long 0xD3D8403F, 0x1800015E
.long 0xD3D84044, 0x18000153
.long 0xD3D84045, 0x18000157
.long 0xD3D84046, 0x1800015B
.long 0xD3D84047, 0x1800015F
.long 0xD3D84048, 0x18000160
.long 0xD3D84049, 0x18000164
.long 0xD3D8404A, 0x18000168
.long 0xD3D8404B, 0x1800016C
.long 0xD3D84050, 0x18000161
.long 0xD3D84051, 0x18000165
.long 0xD3D84052, 0x18000169
.long 0xD3D84053, 0x1800016D
.long 0xD3D84054, 0x18000162
.long 0xD3D84055, 0x18000166
.long 0xD3D84056, 0x1800016A
.long 0xD3D84057, 0x1800016E
.long 0xD3D8405C, 0x18000163
.long 0xD3D8405D, 0x18000167
.long 0xD3D8405E, 0x1800016B
.long 0xD3D8405F, 0x1800016F
.long 0xD3D84060, 0x18000170
.long 0xD3D84061, 0x18000174
.long 0xD3D84062, 0x18000178
.long 0xD3D84063, 0x1800017C
.long 0xD3D84068, 0x18000171
.long 0xD3D84069, 0x18000175
.long 0xD3D8406A, 0x18000179
.long 0xD3D8406B, 0x1800017D
.long 0xD3D8406C, 0x18000172
.long 0xD3D8406D, 0x18000176
.long 0xD3D8406E, 0x1800017A
.long 0xD3D8406F, 0x1800017E
.long 0xD3D84074, 0x18000173
.long 0xD3D84075, 0x18000177
.long 0xD3D84076, 0x1800017B
.long 0xD3D84077, 0x1800017F
.long 0xBF800001
.long 0x0A30302C
.long 0x0A32322C
.long 0x0A34342C
.long 0x0A36362C
.long 0x0A40402C
.long 0x0A42422C
.long 0x0A44442C
.long 0x0A46462C
.long 0x0A48482C
.long 0x0A4A4A2C
.long 0x0A4C4C2C
.long 0x0A4E4E2C
.long 0x0A58582C
.long 0x0A5A5A2C
.long 0x0A5C5C2C
.long 0x0A5E5E2C
.long 0x0A60602C
.long 0x0A62622C
.long 0x0A64642C
.long 0x0A66662C
.long 0x0A70702C
.long 0x0A72722C
.long 0x0A74742C
.long 0x0A76762C
.long 0x0A78782C
.long 0x0A7A7A2C
.long 0x0A7C7C2C
.long 0x0A7E7E2C
.long 0x0A88882C
.long 0x0A8A8A2C
.long 0x0A8C8C2C
.long 0x0A8E8E2C
.long 0x0A90902C
.long 0x0A92922C
.long 0x0A94942C
.long 0x0A96962C
.long 0x0AA0A02C
.long 0x0AA2A22C
.long 0x0AA4A42C
.long 0x0AA6A62C
.long 0x0AA8A82C
.long 0x0AAAAA2C
.long 0x0AACAC2C
.long 0x0AAEAE2C
.long 0x0AB8B82C
.long 0x0ABABA2C
.long 0x0ABCBC2C
.long 0x0ABEBE2C
.long 0x0AC0C02C
.long 0x0AC2C22C
.long 0x0AC4C42C
.long 0x0AC6C62C
.long 0x0AD0D02C
.long 0x0AD2D22C
.long 0x0AD4D42C
.long 0x0AD6D62C
.long 0x0AD8D82C
.long 0x0ADADA2C
.long 0x0ADCDC2C
.long 0x0ADEDE2C
.long 0x0AE8E82C
.long 0x0AEAEA2C
.long 0x0AECEC2C
.long 0x0AEEEE2C
.long 0xBF8C007F
.long 0xD0CC0034, 0x00010042
.long 0xD1000014, 0x00D228F2
.long 0xD1000015, 0x00D22AF2
.long 0xD3B14018, 0x18023114
.long 0xD0CC0034, 0x00010042
.long 0xD1000016, 0x00D22CF2
.long 0xD1000017, 0x00D22EF2
.long 0xD3B1401A, 0x18023516
.long 0xD3A00018, 0x14621C2D
.long 0xD3A01019, 0x14661C2D
.long 0xD3A0001A, 0x146A1E2D
.long 0xD3A0101B, 0x146E1E2D
.long 0xD3B24004, 0x18023110
.long 0xD3B24006, 0x18023512
.long 0xBEC81E3E
.long 0x7E300304
.long 0x7E320305
.long 0x7E340306
.long 0x7E360307
.long 0x7E301518
.long 0x7E321519
.long 0xD2A00018, 0x00023318
.long 0x7E34151A
.long 0x7E36151B
.long 0xD2A00019, 0x0002371A
.long 0x924A9A24
.long 0x80104A10
.long 0x82118011
.long 0xE0741000, 0x80041809
.long 0xBF8C0F7F
.long 0xD0CC0034, 0x00010042
.long 0xD1000014, 0x00D228F2
.long 0xD1000015, 0x00D22AF2
.long 0xD3B14020, 0x18024114
.long 0xD0CC0034, 0x00010042
.long 0xD1000016, 0x00D22CF2
.long 0xD1000017, 0x00D22EF2
.long 0xD3B14022, 0x18024516
.long 0xD3A00020, 0x1482382D
.long 0xD3A01021, 0x1486382D
.long 0xD3A00022, 0x148A3A2D
.long 0xD3A01023, 0x148E3A2D
.long 0xD3B24004, 0x18024110
.long 0xD3B24006, 0x18024512
.long 0xBEC81E3E
.long 0x7E400304
.long 0x7E420305
.long 0x7E440306
.long 0x7E460307
.long 0x7E401520
.long 0x7E421521
.long 0xD2A00020, 0x00024320
.long 0x7E441522
.long 0x7E461523
.long 0xD2A00021, 0x00024722
.long 0x8E4A8124
.long 0x80104A10
.long 0x82118011
.long 0xE0741000, 0x80042009
.long 0xBF8C0F7F
	;; [unrolled: 30-line block ×16, first 2 shown]
.long 0x924A9A26
.long 0x80144A14
	;; [unrolled: 1-line block ×3, first 2 shown]
.long 0xE0541000, 0x80050E0A
.long 0x924A02FF, 0x00000100
.long 0xD135000B, 0x00009500
.long 0x24161682
.long 0xD9FE0000, 0x1000000B
.long 0xE05C1000, 0x8010140C
.long 0x8E4A8126
.long 0x80144A14
.long 0x82158015
.long 0xE0541000, 0x80051C0A
.long 0x8E4A8126
.long 0x80144A14
.long 0x82158015
	;; [unrolled: 4-line block ×15, first 2 shown]
.long 0xE0541000, 0x8005700A
.long 0xD3D84018, 0x18000180
	;; [unrolled: 1-line block ×65, first 2 shown]
.long 0xBF800001
.long 0x0A30302C
	;; [unrolled: 1-line block ×66, first 2 shown]
.long 0xD0CC0034, 0x00010042
.long 0xD1000014, 0x00D228F2
.long 0xD1000015, 0x00D22AF2
.long 0xD3B14018, 0x18023114
.long 0xD0CC0034, 0x00010042
.long 0xD1000016, 0x00D22CF2
.long 0xD1000017, 0x00D22EF2
.long 0xD3B1401A, 0x18023516
.long 0xD3A00018, 0x14621C2D
.long 0xD3A01019, 0x14661C2D
.long 0xD3A0001A, 0x146A1E2D
.long 0xD3A0101B, 0x146E1E2D
.long 0xD3B24004, 0x18023110
.long 0xD3B24006, 0x18023512
.long 0xBEC81E3E
.long 0x7E300304
.long 0x7E320305
.long 0x7E340306
.long 0x7E360307
.long 0x7E301518
.long 0x7E321519
.long 0xD2A00018, 0x00023318
.long 0x7E34151A
.long 0x7E36151B
.long 0xD2A00019, 0x0002371A
.long 0x924A9A24
.long 0x80104A10
.long 0x82118011
.long 0xE0741000, 0x80041809
.long 0xBF8C0F7F
.long 0xD0CC0034, 0x00010042
.long 0xD1000014, 0x00D228F2
.long 0xD1000015, 0x00D22AF2
.long 0xD3B14020, 0x18024114
.long 0xD0CC0034, 0x00010042
.long 0xD1000016, 0x00D22CF2
.long 0xD1000017, 0x00D22EF2
.long 0xD3B14022, 0x18024516
.long 0xD3A00020, 0x1482382D
.long 0xD3A01021, 0x1486382D
.long 0xD3A00022, 0x148A3A2D
.long 0xD3A01023, 0x148E3A2D
.long 0xD3B24004, 0x18024110
.long 0xD3B24006, 0x18024512
.long 0xBEC81E3E
.long 0x7E400304
.long 0x7E420305
.long 0x7E440306
.long 0x7E460307
.long 0x7E401520
.long 0x7E421521
.long 0xD2A00020, 0x00024320
.long 0x7E441522
.long 0x7E461523
.long 0xD2A00021, 0x00024722
.long 0x8E4A8124
.long 0x80104A10
.long 0x82118011
.long 0xE0741000, 0x80042009
.long 0xBF8C0F7F
	;; [unrolled: 30-line block ×16, first 2 shown]
.long 0x924A9A26
.long 0x80144A14
	;; [unrolled: 1-line block ×3, first 2 shown]
.long 0xE0541000, 0x80050E0A
.long 0x924A02FF, 0x00000100
	;; [unrolled: 1-line block ×3, first 2 shown]
.long 0x24161682
.long 0xD9FE0000, 0x1000000B
.long 0xE05C1000, 0x8010140C
.long 0x8E4A8126
.long 0x80144A14
.long 0x82158015
.long 0xE0541000, 0x80051C0A
.long 0x8E4A8126
.long 0x80144A14
.long 0x82158015
	;; [unrolled: 4-line block ×7, first 2 shown]
.long 0xE0541000, 0x8005400A
.long 0xD3D84018, 0x180001C0
	;; [unrolled: 1-line block ×33, first 2 shown]
.long 0xBF800001
.long 0x0A30302C
	;; [unrolled: 1-line block ×34, first 2 shown]
.long 0xD0CC0034, 0x00010042
.long 0xD1000014, 0x00D228F2
.long 0xD1000015, 0x00D22AF2
.long 0xD3B14018, 0x18023114
.long 0xD0CC0034, 0x00010042
.long 0xD1000016, 0x00D22CF2
.long 0xD1000017, 0x00D22EF2
.long 0xD3B1401A, 0x18023516
.long 0xD3A00018, 0x14621C2D
.long 0xD3A01019, 0x14661C2D
.long 0xD3A0001A, 0x146A1E2D
.long 0xD3A0101B, 0x146E1E2D
.long 0xD3B24004, 0x18023110
.long 0xD3B24006, 0x18023512
.long 0xBEC81E3E
.long 0x7E300304
.long 0x7E320305
.long 0x7E340306
.long 0x7E360307
.long 0x7E301518
.long 0x7E321519
.long 0xD2A00018, 0x00023318
.long 0x7E34151A
.long 0x7E36151B
.long 0xD2A00019, 0x0002371A
.long 0x924A9A24
.long 0x80104A10
.long 0x82118011
.long 0xE0741000, 0x80041809
.long 0xBF8C0F77
.long 0xD0CC0034, 0x00010042
.long 0xD1000014, 0x00D228F2
.long 0xD1000015, 0x00D22AF2
.long 0xD3B14020, 0x18024114
.long 0xD0CC0034, 0x00010042
.long 0xD1000016, 0x00D22CF2
.long 0xD1000017, 0x00D22EF2
.long 0xD3B14022, 0x18024516
.long 0xD3A00020, 0x1482382D
.long 0xD3A01021, 0x1486382D
.long 0xD3A00022, 0x148A3A2D
.long 0xD3A01023, 0x148E3A2D
.long 0xD3B24004, 0x18024110
.long 0xD3B24006, 0x18024512
.long 0xBEC81E3E
.long 0x7E400304
.long 0x7E420305
.long 0x7E440306
.long 0x7E460307
.long 0x7E401520
.long 0x7E421521
.long 0xD2A00020, 0x00024320
.long 0x7E441522
.long 0x7E461523
.long 0xD2A00021, 0x00024722
.long 0x8E4A8124
.long 0x80104A10
.long 0x82118011
.long 0xE0741000, 0x80042009
.long 0xBF8C0F77
.long 0xD0CC0034, 0x00010042
.long 0xD1000014, 0x00D228F2
.long 0xD1000015, 0x00D22AF2
.long 0xD3B14024, 0x18024914
.long 0xD0CC0034, 0x00010042
.long 0xD1000016, 0x00D22CF2
.long 0xD1000017, 0x00D22EF2
.long 0xD3B14026, 0x18024D16
.long 0xD3A00024, 0x14923C2D
.long 0xD3A01025, 0x14963C2D
.long 0xD3A00026, 0x149A3E2D
.long 0xD3A01027, 0x149E3E2D
.long 0xD3B24004, 0x18024910
.long 0xD3B24006, 0x18024D12
.long 0xBEC81E3E
.long 0x7E480304
.long 0x7E4A0305
.long 0x7E4C0306
.long 0x7E4E0307
.long 0x7E481524
.long 0x7E4A1525
.long 0xD2A00024, 0x00024B24
.long 0x7E4C1526
.long 0x7E4E1527
.long 0xD2A00025, 0x00024F26
.long 0x8E4A8124
.long 0x80104A10
.long 0x82118011
.long 0xE0741000, 0x80042409
.long 0xBF8C0F77
.long 0xD0CC0034, 0x00010042
.long 0xD1000014, 0x00D228F2
.long 0xD1000015, 0x00D22AF2
.long 0xD3B1402C, 0x18025914
.long 0xD0CC0034, 0x00010042
.long 0xD1000016, 0x00D22CF2
.long 0xD1000017, 0x00D22EF2
.long 0xD3B1402E, 0x18025D16
.long 0xD3A0002C, 0x14B2502D
.long 0xD3A0102D, 0x14B6502D
.long 0xD3A0002E, 0x14BA522D
.long 0xD3A0102F, 0x14BE522D
.long 0xD3B24004, 0x18025910
.long 0xD3B24006, 0x18025D12
.long 0xBEC81E3E
.long 0x7E580304
.long 0x7E5A0305
.long 0x7E5C0306
.long 0x7E5E0307
.long 0x7E58152C
.long 0x7E5A152D
.long 0xD2A0002C, 0x00025B2C
.long 0x7E5C152E
.long 0x7E5E152F
.long 0xD2A0002D, 0x00025F2E
.long 0x8E4A8124
.long 0x80104A10
.long 0x82118011
.long 0xE0741000, 0x80042C09
.long 0xBF8C0F77
.long 0xD0CC0034, 0x00010042
.long 0xD1000014, 0x00D228F2
.long 0xD1000015, 0x00D22AF2
.long 0xD3B14030, 0x18026114
.long 0xD0CC0034, 0x00010042
.long 0xD1000016, 0x00D22CF2
.long 0xD1000017, 0x00D22EF2
.long 0xD3B14032, 0x18026516
.long 0xD3A00030, 0x14C2542D
.long 0xD3A01031, 0x14C6542D
.long 0xD3A00032, 0x14CA562D
.long 0xD3A01033, 0x14CE562D
.long 0xD3B24004, 0x18026110
.long 0xD3B24006, 0x18026512
.long 0xBEC81E3E
.long 0x7E600304
.long 0x7E620305
.long 0x7E640306
.long 0x7E660307
.long 0x7E601530
.long 0x7E621531
.long 0xD2A00030, 0x00026330
.long 0x7E641532
.long 0x7E661533
.long 0xD2A00031, 0x00026732
.long 0x924A9A24
.long 0x80104A10
.long 0x82118011
.long 0xE0741000, 0x80043009
.long 0xBF8C0F77
.long 0xD0CC0034, 0x00010042
.long 0xD1000014, 0x00D228F2
.long 0xD1000015, 0x00D22AF2
.long 0xD3B14038, 0x18027114
.long 0xD0CC0034, 0x00010042
.long 0xD1000016, 0x00D22CF2
.long 0xD1000017, 0x00D22EF2
.long 0xD3B1403A, 0x18027516
.long 0xD3A00038, 0x14E2682D
.long 0xD3A01039, 0x14E6682D
.long 0xD3A0003A, 0x14EA6A2D
.long 0xD3A0103B, 0x14EE6A2D
.long 0xD3B24004, 0x18027110
.long 0xD3B24006, 0x18027512
.long 0xBEC81E3E
.long 0x7E700304
.long 0x7E720305
.long 0x7E740306
.long 0x7E760307
.long 0x7E701538
.long 0x7E721539
.long 0xD2A00038, 0x00027338
.long 0x7E74153A
.long 0x7E76153B
.long 0xD2A00039, 0x0002773A
.long 0x8E4A8124
.long 0x80104A10
.long 0x82118011
.long 0xE0741000, 0x80043809
.long 0xBF8C0F77
.long 0xD0CC0034, 0x00010042
.long 0xD1000014, 0x00D228F2
.long 0xD1000015, 0x00D22AF2
.long 0xD3B1403C, 0x18027914
.long 0xD0CC0034, 0x00010042
.long 0xD1000016, 0x00D22CF2
.long 0xD1000017, 0x00D22EF2
.long 0xD3B1403E, 0x18027D16
.long 0xD3A0003C, 0x14F26C2D
.long 0xD3A0103D, 0x14F66C2D
.long 0xD3A0003E, 0x14FA6E2D
.long 0xD3A0103F, 0x14FE6E2D
.long 0xD3B24004, 0x18027910
.long 0xD3B24006, 0x18027D12
.long 0xBEC81E3E
.long 0x7E780304
.long 0x7E7A0305
.long 0x7E7C0306
.long 0x7E7E0307
.long 0x7E78153C
.long 0x7E7A153D
.long 0xD2A0003C, 0x00027B3C
.long 0x7E7C153E
.long 0x7E7E153F
.long 0xD2A0003D, 0x00027F3E
.long 0x8E4A8124
.long 0x80104A10
.long 0x82118011
.long 0xE0741000, 0x80043C09
.long 0xBF8C0F77
.long 0xD0CC0034, 0x00010042
.long 0xD1000014, 0x00D228F2
.long 0xD1000015, 0x00D22AF2
.long 0xD3B14044, 0x18028914
.long 0xD0CC0034, 0x00010042
.long 0xD1000016, 0x00D22CF2
.long 0xD1000017, 0x00D22EF2
.long 0xD3B14046, 0x18028D16
.long 0xD3A00044, 0x1512802D
.long 0xD3A01045, 0x1516802D
.long 0xD3A00046, 0x151A822D
.long 0xD3A01047, 0x151E822D
.long 0xD3B24004, 0x18028910
.long 0xD3B24006, 0x18028D12
.long 0xBEC81E3E
.long 0x7E880304
.long 0x7E8A0305
.long 0x7E8C0306
.long 0x7E8E0307
.long 0x7E881544
.long 0x7E8A1545
.long 0xD2A00044, 0x00028B44
.long 0x7E8C1546
.long 0x7E8E1547
.long 0xD2A00045, 0x00028F46
.long 0x8E4A8124
.long 0x80104A10
.long 0x82118011
.long 0xE0741000, 0x80044409
.long 0xBF800000
.long 0xBF8213A0
.long 0x7F1202FF, 0x80000000
.long 0xD0C9004A, 0x00003100
	;; [unrolled: 1-line block ×3, first 2 shown]
.long 0x86CE4E4A
.long 0xD1FE0009, 0x02060102
.long 0xD1000009, 0x013A1389
	;; [unrolled: 1-line block ×5, first 2 shown]
.long 0x24141482
.long 0xD100000A, 0x013A1589
.long 0xBF8CC07F
.long 0xBF8A0000
.long 0xD9FE0000, 0x1000000A
.long 0x24160082
.long 0xE05C1000, 0x8010140B
.long 0xD1FE0009, 0x02060103
	;; [unrolled: 1-line block ×8, first 2 shown]
.long 0x86CE4E4A
.long 0xD1FE000E, 0x02060102
.long 0xD100000E, 0x013A1D89
	;; [unrolled: 1-line block ×5, first 2 shown]
.long 0x241E1E82
.long 0xD100000F, 0x013A1F89
.long 0x24380082
.long 0xD1FE000E, 0x02060103
.long 0xD100000E, 0x013A1D89
	;; [unrolled: 1-line block ×7, first 2 shown]
.long 0x86CE4E4A
.long 0xD1FE001D, 0x02060102
.long 0xD100001D, 0x013A3B89
.long 0xE0541000, 0x8005261D
.long 0x924A02FF, 0x00000100
.long 0xD1350024, 0x00009500
.long 0x24484882
.long 0xD1000024, 0x013A4989
.long 0x244A0082
.long 0xD1FE001D, 0x02060103
.long 0xD100001D, 0x013A3B89
	;; [unrolled: 1-line block ×7, first 2 shown]
.long 0x86CE4E4A
.long 0xD1FE002C, 0x02060102
.long 0xD100002C, 0x013A5989
	;; [unrolled: 1-line block ×5, first 2 shown]
.long 0x245A5A82
.long 0xD100002D, 0x013A5B89
.long 0x245C0082
.long 0xD1FE002C, 0x02060103
.long 0xD100002C, 0x013A5989
.long 0xD1196A01, 0x00011B01
.long 0x924A8D26
.long 0xD1340002, 0x00009502
.long 0x924A8D24
.long 0xD1340003, 0x00009503
.long 0xD0C9004A, 0x00003100
.long 0xD0C9004E, 0x00003301
.long 0x86CE4E4A
.long 0xD1FE002F, 0x02060102
.long 0xD100002F, 0x013A5F89
.long 0xE0541000, 0x8005382F
.long 0x924A02FF, 0x00000100
.long 0xD1350032, 0x00009500
.long 0x24646482
.long 0xD1000032, 0x013A6589
.long 0x24660082
.long 0xD1FE002F, 0x02060103
.long 0xD100002F, 0x013A5F89
.long 0xD1196A01, 0x00010301
.long 0xD1340002, 0x00004D02
.long 0xD1340003, 0x00004903
.long 0xD0C9004A, 0x00003100
.long 0xD0C9004E, 0x00003301
.long 0x86CE4E4A
.long 0xD1FE003A, 0x02060102
.long 0xD100003A, 0x013A7589
.long 0xE0541000, 0x8005423A
.long 0x924A02FF, 0x00000100
.long 0xD135003B, 0x00009500
.long 0x24767682
.long 0xD100003B, 0x013A7789
.long 0x24800082
.long 0xD1FE003A, 0x02060103
.long 0xD100003A, 0x013A7589
.long 0xD1196A01, 0x00010301
.long 0xD1340002, 0x00004D02
	;; [unrolled: 16-line block ×3, first 2 shown]
.long 0xD1340003, 0x00004903
.long 0xD0C9004A, 0x00003100
	;; [unrolled: 1-line block ×3, first 2 shown]
.long 0x86CE4E4A
.long 0xD1FE0050, 0x02060102
.long 0xD1000050, 0x013AA189
	;; [unrolled: 1-line block ×5, first 2 shown]
.long 0x24A2A282
.long 0xD1000051, 0x013AA389
.long 0x24A40082
.long 0xD1FE0050, 0x02060103
.long 0xD1000050, 0x013AA189
	;; [unrolled: 1-line block ×3, first 2 shown]
.long 0x924A8D26
.long 0xD1340002, 0x00009502
.long 0x924A8D24
.long 0xD1340003, 0x00009503
.long 0xD0C9004A, 0x00003100
.long 0xD0C9004E, 0x00003301
.long 0x86CE4E4A
.long 0xD1FE0053, 0x02060102
.long 0xD1000053, 0x013AA789
.long 0xE0541000, 0x80055C53
.long 0x924A02FF, 0x00000100
.long 0xD1350056, 0x00009500
.long 0x24ACAC82
.long 0xD1000056, 0x013AAD89
.long 0x24AE0082
.long 0xD1FE0053, 0x02060103
.long 0xD1000053, 0x013AA789
.long 0xD1196A01, 0x00010301
.long 0xD1340002, 0x00004D02
.long 0xD1340003, 0x00004903
.long 0xD0C9004A, 0x00003100
.long 0xD0C9004E, 0x00003301
.long 0x86CE4E4A
.long 0xD1FE005E, 0x02060102
.long 0xD100005E, 0x013ABD89
.long 0xE0541000, 0x8005665E
.long 0x924A02FF, 0x00000100
.long 0xD135005F, 0x00009500
.long 0x24BEBE82
.long 0xD100005F, 0x013ABF89
.long 0x24C80082
.long 0xD1FE005E, 0x02060103
.long 0xD100005E, 0x013ABD89
.long 0xD1196A01, 0x00010301
.long 0xD1340002, 0x00004D02
	;; [unrolled: 16-line block ×3, first 2 shown]
.long 0xD1340003, 0x00004903
.long 0xD0C9004A, 0x00003100
.long 0xD0C9004E, 0x00003301
.long 0x86CE4E4A
.long 0xD1FE0074, 0x02060102
.long 0xD1000074, 0x013AE989
	;; [unrolled: 1-line block ×5, first 2 shown]
.long 0x24EAEA82
.long 0xD1000075, 0x013AEB89
.long 0x24EC0082
.long 0xD1FE0074, 0x02060103
.long 0xD1000074, 0x013AE989
	;; [unrolled: 1-line block ×3, first 2 shown]
.long 0x924A8D26
.long 0xD1340002, 0x00009502
.long 0x924A8D24
.long 0xD1340003, 0x00009503
.long 0xD0C9004A, 0x00003100
	;; [unrolled: 1-line block ×3, first 2 shown]
.long 0x86CE4E4A
.long 0xD1FE0077, 0x02060102
.long 0xD1000077, 0x013AEF89
	;; [unrolled: 1-line block ×5, first 2 shown]
.long 0x24F4F482
.long 0xD100007A, 0x013AF589
.long 0x24F60082
.long 0xD1FE0077, 0x02060103
.long 0xD1000077, 0x013AEF89
	;; [unrolled: 1-line block ×7, first 2 shown]
.long 0x86CE4E4A
.long 0xD1FE0082, 0x02060102
.long 0xD1000082, 0x013B0589
	;; [unrolled: 1-line block ×5, first 2 shown]
.long 0x25070682
.long 0xD1000083, 0x013B0789
.long 0x25100082
.long 0xD1FE0082, 0x02060103
.long 0xD1000082, 0x013B0589
	;; [unrolled: 1-line block ×58, first 2 shown]
.long 0xBF800001
.long 0x0A30302C
	;; [unrolled: 1-line block ×58, first 2 shown]
.long 0xD0CC0034, 0x00010042
.long 0xD1000014, 0x00D228F2
.long 0xD1000015, 0x00D22AF2
.long 0xD3B14018, 0x18023114
.long 0xD0CC0034, 0x00010042
.long 0xD1000016, 0x00D22CF2
.long 0xD1000017, 0x00D22EF2
.long 0xD3B1401A, 0x18023516
.long 0xD3A00018, 0x1462182D
.long 0xD3A01019, 0x1466182D
.long 0xD3A0001A, 0x146A1A2D
.long 0xD3A0101B, 0x146E1A2D
.long 0xD3B24004, 0x18023110
.long 0xD3B24006, 0x18023512
.long 0xBEC81E3E
.long 0x7E300304
.long 0x7E320305
.long 0x7E340306
.long 0x7E360307
.long 0x7E301518
.long 0x7E321519
.long 0xD2A00018, 0x00023318
.long 0x7E34151A
.long 0x7E36151B
.long 0xD2A00019, 0x0002371A
.long 0xE0741000, 0x80041809
.long 0xD0CC0034, 0x00010042
.long 0xD1000014, 0x00D228F2
.long 0xD1000015, 0x00D22AF2
.long 0xD3B14020, 0x18024114
.long 0xD0CC0034, 0x00010042
.long 0xD1000016, 0x00D22CF2
.long 0xD1000017, 0x00D22EF2
.long 0xD3B14022, 0x18024516
.long 0xD3A00020, 0x14823C2D
.long 0xD3A01021, 0x14863C2D
.long 0xD3A00022, 0x148A3E2D
.long 0xD3A01023, 0x148E3E2D
.long 0xD3B24004, 0x18024110
.long 0xD3B24006, 0x18024512
.long 0xBEC81E3E
.long 0x7E400304
.long 0x7E420305
.long 0x7E440306
.long 0x7E460307
.long 0x7E401520
.long 0x7E421521
.long 0xD2A00020, 0x00024320
.long 0x7E441522
.long 0x7E461523
.long 0xD2A00021, 0x00024722
.long 0xE0741000, 0x8004200E
	;; [unrolled: 26-line block ×14, first 2 shown]
.long 0xBF800000
.long 0x7F1202FF, 0x80000000
.long 0xD1196A01, 0x00010301
	;; [unrolled: 1-line block ×6, first 2 shown]
.long 0x86CE4E4A
.long 0xD1FE0009, 0x02060102
.long 0xD1000009, 0x013A1389
	;; [unrolled: 1-line block ×5, first 2 shown]
.long 0x24141482
.long 0xD100000A, 0x013A1589
.long 0xD9FE0000, 0x1000000A
.long 0x24160082
.long 0xE05C1000, 0x8010140B
.long 0xD1FE0009, 0x02060103
	;; [unrolled: 1-line block ×8, first 2 shown]
.long 0x86CE4E4A
.long 0xD1FE000E, 0x02060102
.long 0xD100000E, 0x013A1D89
.long 0xE0541000, 0x80051E0E
.long 0x924A02FF, 0x00000100
.long 0xD135000F, 0x00009500
.long 0x241E1E82
.long 0xD100000F, 0x013A1F89
.long 0x24380082
.long 0xD1FE000E, 0x02060103
.long 0xD100000E, 0x013A1D89
	;; [unrolled: 1-line block ×3, first 2 shown]
.long 0x924A8D26
.long 0xD1340002, 0x00009502
.long 0x924A8D24
.long 0xD1340003, 0x00009503
.long 0xD0C9004A, 0x00003100
.long 0xD0C9004E, 0x00003301
.long 0x86CE4E4A
.long 0xD1FE001D, 0x02060102
.long 0xD100001D, 0x013A3B89
.long 0xE0541000, 0x8005261D
.long 0x924A02FF, 0x00000100
.long 0xD1350024, 0x00009500
.long 0x24484882
.long 0xD1000024, 0x013A4989
.long 0x244A0082
.long 0xD1FE001D, 0x02060103
.long 0xD100001D, 0x013A3B89
.long 0xD1196A01, 0x00010301
.long 0xD1340002, 0x00004D02
.long 0xD1340003, 0x00004903
.long 0xD0C9004A, 0x00003100
.long 0xD0C9004E, 0x00003301
.long 0x86CE4E4A
.long 0xD1FE002C, 0x02060102
.long 0xD100002C, 0x013A5989
.long 0xE0541000, 0x8005302C
.long 0x924A02FF, 0x00000100
.long 0xD135002D, 0x00009500
.long 0x245A5A82
.long 0xD100002D, 0x013A5B89
.long 0x245C0082
.long 0xD1FE002C, 0x02060103
.long 0xD100002C, 0x013A5989
.long 0xD1196A01, 0x00010301
.long 0xD1340002, 0x00004D02
	;; [unrolled: 16-line block ×3, first 2 shown]
.long 0xD1340003, 0x00004903
.long 0xD0C9004A, 0x00003100
	;; [unrolled: 1-line block ×3, first 2 shown]
.long 0x86CE4E4A
.long 0xD1FE003A, 0x02060102
.long 0xD100003A, 0x013A7589
	;; [unrolled: 1-line block ×5, first 2 shown]
.long 0x24767682
.long 0xD100003B, 0x013A7789
.long 0x24800082
.long 0xD1FE003A, 0x02060103
.long 0xD100003A, 0x013A7589
	;; [unrolled: 1-line block ×3, first 2 shown]
.long 0x924A8D26
.long 0xD1340002, 0x00009502
.long 0x924A8D24
.long 0xD1340003, 0x00009503
.long 0xD0C9004A, 0x00003100
.long 0xD0C9004E, 0x00003301
.long 0x86CE4E4A
.long 0xD1FE0041, 0x02060102
.long 0xD1000041, 0x013A8389
.long 0xE0541000, 0x80054A41
.long 0x924A02FF, 0x00000100
.long 0xD1350048, 0x00009500
.long 0x24909082
.long 0xD1000048, 0x013A9189
.long 0x24920082
.long 0xD1FE0041, 0x02060103
.long 0xD1000041, 0x013A8389
.long 0xD1196A01, 0x00010301
.long 0xD1340002, 0x00004D02
.long 0xD1340003, 0x00004903
.long 0xD0C9004A, 0x00003100
.long 0xD0C9004E, 0x00003301
.long 0x86CE4E4A
.long 0xD1FE0050, 0x02060102
.long 0xD1000050, 0x013AA189
.long 0xE0541000, 0x80055450
.long 0x924A02FF, 0x00000100
.long 0xD1350051, 0x00009500
.long 0x24A2A282
.long 0xD1000051, 0x013AA389
.long 0x24A40082
.long 0xD1FE0050, 0x02060103
.long 0xD1000050, 0x013AA189
.long 0xD1196A01, 0x00010301
.long 0xD1340002, 0x00004D02
	;; [unrolled: 16-line block ×3, first 2 shown]
.long 0xD1340003, 0x00004903
.long 0xD0C9004A, 0x00003100
	;; [unrolled: 1-line block ×3, first 2 shown]
.long 0x86CE4E4A
.long 0xD1FE005E, 0x02060102
.long 0xD100005E, 0x013ABD89
	;; [unrolled: 1-line block ×5, first 2 shown]
.long 0x24BEBE82
.long 0xD100005F, 0x013ABF89
.long 0x24C80082
.long 0xD1FE005E, 0x02060103
.long 0xD100005E, 0x013ABD89
	;; [unrolled: 1-line block ×3, first 2 shown]
.long 0x924A8D26
.long 0xD1340002, 0x00009502
.long 0x924A8D24
.long 0xD1340003, 0x00009503
.long 0xD0C9004A, 0x00003100
.long 0xD0C9004E, 0x00003301
.long 0x86CE4E4A
.long 0xD1FE0065, 0x02060102
.long 0xD1000065, 0x013ACB89
.long 0xE0541000, 0x80056E65
.long 0x924A02FF, 0x00000100
.long 0xD135006C, 0x00009500
.long 0x24D8D882
.long 0xD100006C, 0x013AD989
.long 0x24DA0082
.long 0xD1FE0065, 0x02060103
.long 0xD1000065, 0x013ACB89
.long 0xD1196A01, 0x00010301
.long 0xD1340002, 0x00004D02
.long 0xD1340003, 0x00004903
.long 0xD0C9004A, 0x00003100
.long 0xD0C9004E, 0x00003301
.long 0x86CE4E4A
.long 0xD1FE0074, 0x02060102
.long 0xD1000074, 0x013AE989
.long 0xE0541000, 0x80057874
.long 0x924A02FF, 0x00000100
.long 0xD1350075, 0x00009500
.long 0x24EAEA82
.long 0xD1000075, 0x013AEB89
.long 0x24EC0082
.long 0xD1FE0074, 0x02060103
.long 0xD1000074, 0x013AE989
.long 0xD1196A01, 0x00010301
.long 0xD1340002, 0x00004D02
	;; [unrolled: 16-line block ×4, first 2 shown]
.long 0xD3D8401A, 0x1800013A
.long 0xD3D8401B, 0x1800013E
	;; [unrolled: 1-line block ×54, first 2 shown]
.long 0xBF800001
.long 0x0A30302C
	;; [unrolled: 1-line block ×58, first 2 shown]
.long 0xD0CC0034, 0x00010042
.long 0xD1000014, 0x00D228F2
.long 0xD1000015, 0x00D22AF2
.long 0xD3B14018, 0x18023114
.long 0xD0CC0034, 0x00010042
.long 0xD1000016, 0x00D22CF2
.long 0xD1000017, 0x00D22EF2
.long 0xD3B1401A, 0x18023516
.long 0xD3A00018, 0x1462182D
.long 0xD3A01019, 0x1466182D
.long 0xD3A0001A, 0x146A1A2D
.long 0xD3A0101B, 0x146E1A2D
.long 0xD3B24004, 0x18023110
.long 0xD3B24006, 0x18023512
.long 0xBEC81E3E
.long 0x7E300304
.long 0x7E320305
.long 0x7E340306
.long 0x7E360307
.long 0x7E301518
.long 0x7E321519
.long 0xD2A00018, 0x00023318
.long 0x7E34151A
.long 0x7E36151B
.long 0xD2A00019, 0x0002371A
.long 0xE0741000, 0x80041809
.long 0xD0CC0034, 0x00010042
.long 0xD1000014, 0x00D228F2
.long 0xD1000015, 0x00D22AF2
.long 0xD3B14020, 0x18024114
.long 0xD0CC0034, 0x00010042
.long 0xD1000016, 0x00D22CF2
.long 0xD1000017, 0x00D22EF2
.long 0xD3B14022, 0x18024516
.long 0xD3A00020, 0x14823C2D
.long 0xD3A01021, 0x14863C2D
.long 0xD3A00022, 0x148A3E2D
.long 0xD3A01023, 0x148E3E2D
.long 0xD3B24004, 0x18024110
.long 0xD3B24006, 0x18024512
.long 0xBEC81E3E
.long 0x7E400304
.long 0x7E420305
.long 0x7E440306
.long 0x7E460307
.long 0x7E401520
.long 0x7E421521
.long 0xD2A00020, 0x00024320
.long 0x7E441522
.long 0x7E461523
.long 0xD2A00021, 0x00024722
.long 0xE0741000, 0x8004200E
	;; [unrolled: 26-line block ×14, first 2 shown]
.long 0xBF800000
.long 0x7F1202FF, 0x80000000
.long 0xD1196A01, 0x00011B01
.long 0x924A8D26
.long 0xD1340002, 0x00009502
.long 0x924A8D24
.long 0xD1340003, 0x00009503
.long 0xD0C9004A, 0x00003100
.long 0xD0C9004E, 0x00003301
.long 0x86CE4E4A
.long 0xD1FE0009, 0x02060102
.long 0xD1000009, 0x013A1389
.long 0xE0541000, 0x80050C09
.long 0x924A02FF, 0x00000100
.long 0xD135000A, 0x00009500
.long 0x24141482
.long 0xD100000A, 0x013A1589
.long 0xD9FE0000, 0x1000000A
.long 0x24160082
.long 0xE05C1000, 0x8010140B
.long 0xD1FE0009, 0x02060103
	;; [unrolled: 1-line block ×8, first 2 shown]
.long 0x86CE4E4A
.long 0xD1FE000E, 0x02060102
.long 0xD100000E, 0x013A1D89
	;; [unrolled: 1-line block ×5, first 2 shown]
.long 0x241E1E82
.long 0xD100000F, 0x013A1F89
.long 0x24380082
.long 0xD1FE000E, 0x02060103
.long 0xD100000E, 0x013A1D89
	;; [unrolled: 1-line block ×7, first 2 shown]
.long 0x86CE4E4A
.long 0xD1FE001D, 0x02060102
.long 0xD100001D, 0x013A3B89
	;; [unrolled: 1-line block ×5, first 2 shown]
.long 0x24484882
.long 0xD1000024, 0x013A4989
.long 0x244A0082
.long 0xD1FE001D, 0x02060103
.long 0xD100001D, 0x013A3B89
	;; [unrolled: 1-line block ×7, first 2 shown]
.long 0x86CE4E4A
.long 0xD1FE002C, 0x02060102
.long 0xD100002C, 0x013A5989
	;; [unrolled: 1-line block ×5, first 2 shown]
.long 0x245A5A82
.long 0xD100002D, 0x013A5B89
.long 0x245C0082
.long 0xD1FE002C, 0x02060103
.long 0xD100002C, 0x013A5989
	;; [unrolled: 1-line block ×3, first 2 shown]
.long 0x924A8D26
.long 0xD1340002, 0x00009502
.long 0x924A8D24
.long 0xD1340003, 0x00009503
.long 0xD0C9004A, 0x00003100
.long 0xD0C9004E, 0x00003301
.long 0x86CE4E4A
.long 0xD1FE002F, 0x02060102
.long 0xD100002F, 0x013A5F89
.long 0xE0541000, 0x8005382F
.long 0x924A02FF, 0x00000100
.long 0xD1350032, 0x00009500
.long 0x24646482
.long 0xD1000032, 0x013A6589
.long 0x24660082
.long 0xD1FE002F, 0x02060103
.long 0xD100002F, 0x013A5F89
.long 0xD1196A01, 0x00010301
.long 0xD1340002, 0x00004D02
.long 0xD1340003, 0x00004903
.long 0xD0C9004A, 0x00003100
.long 0xD0C9004E, 0x00003301
.long 0x86CE4E4A
.long 0xD1FE003A, 0x02060102
.long 0xD100003A, 0x013A7589
.long 0xE0541000, 0x8005423A
.long 0x924A02FF, 0x00000100
.long 0xD135003B, 0x00009500
.long 0x24767682
.long 0xD100003B, 0x013A7789
.long 0x24800082
.long 0xD1FE003A, 0x02060103
.long 0xD100003A, 0x013A7589
.long 0xD1196A01, 0x00010301
.long 0xD1340002, 0x00004D02
.long 0xD1340003, 0x00004903
.long 0xD0C9004A, 0x00003100
.long 0xD0C9004E, 0x00003301
.long 0x86CE4E4A
.long 0xD1FE0041, 0x02060102
.long 0xD1000041, 0x013A8389
.long 0xE0541000, 0x80054A41
.long 0x924A02FF, 0x00000100
.long 0xD1350048, 0x00009500
.long 0x24909082
.long 0xD1000048, 0x013A9189
.long 0x24920082
.long 0xD1FE0041, 0x02060103
.long 0xD1000041, 0x013A8389
.long 0xD1196A01, 0x00010301
.long 0xD1340002, 0x00004D02
.long 0xD1340003, 0x00004903
.long 0xD0C9004A, 0x00003100
	;; [unrolled: 1-line block ×3, first 2 shown]
.long 0x86CE4E4A
.long 0xD1FE0050, 0x02060102
.long 0xD1000050, 0x013AA189
.long 0xE0541000, 0x80055450
.long 0x924A02FF, 0x00000100
.long 0xD1350051, 0x00009500
.long 0x24A2A282
.long 0xD1000051, 0x013AA389
.long 0x24A40082
.long 0xD1FE0050, 0x02060103
.long 0xD1000050, 0x013AA189
	;; [unrolled: 1-line block ×3, first 2 shown]
.long 0x924A8D26
.long 0xD1340002, 0x00009502
.long 0x924A8D24
.long 0xD1340003, 0x00009503
.long 0xD0C9004A, 0x00003100
.long 0xD0C9004E, 0x00003301
.long 0x86CE4E4A
.long 0xD1FE0053, 0x02060102
.long 0xD1000053, 0x013AA789
.long 0xE0541000, 0x80055C53
.long 0x924A02FF, 0x00000100
.long 0xD1350056, 0x00009500
.long 0x24ACAC82
.long 0xD1000056, 0x013AAD89
.long 0x24AE0082
.long 0xD1FE0053, 0x02060103
.long 0xD1000053, 0x013AA789
.long 0xD1196A01, 0x00010301
.long 0xD1340002, 0x00004D02
.long 0xD1340003, 0x00004903
.long 0xD0C9004A, 0x00003100
.long 0xD0C9004E, 0x00003301
.long 0x86CE4E4A
.long 0xD1FE005E, 0x02060102
.long 0xD100005E, 0x013ABD89
.long 0xE0541000, 0x8005665E
.long 0x924A02FF, 0x00000100
.long 0xD135005F, 0x00009500
.long 0x24BEBE82
.long 0xD100005F, 0x013ABF89
.long 0x24C80082
.long 0xD1FE005E, 0x02060103
.long 0xD100005E, 0x013ABD89
.long 0xD1196A01, 0x00010301
.long 0xD1340002, 0x00004D02
.long 0xD1340003, 0x00004903
.long 0xD0C9004A, 0x00003100
.long 0xD0C9004E, 0x00003301
.long 0x86CE4E4A
.long 0xD1FE0065, 0x02060102
.long 0xD1000065, 0x013ACB89
.long 0xE0541000, 0x80056E65
.long 0x924A02FF, 0x00000100
.long 0xD135006C, 0x00009500
.long 0x24D8D882
.long 0xD100006C, 0x013AD989
.long 0x24DA0082
.long 0xD1FE0065, 0x02060103
.long 0xD1000065, 0x013ACB89
.long 0xD1196A01, 0x00010301
.long 0xD1340002, 0x00004D02
.long 0xD1340003, 0x00004903
.long 0xD0C9004A, 0x00003100
	;; [unrolled: 1-line block ×3, first 2 shown]
.long 0x86CE4E4A
.long 0xD1FE0074, 0x02060102
.long 0xD1000074, 0x013AE989
	;; [unrolled: 1-line block ×5, first 2 shown]
.long 0x24EAEA82
.long 0xD1000075, 0x013AEB89
.long 0x24EC0082
.long 0xD1FE0074, 0x02060103
.long 0xD1000074, 0x013AE989
.long 0xD1196A01, 0x00011B01
.long 0x924A8D26
.long 0xD1340002, 0x00009502
.long 0x924A8D24
.long 0xD1340003, 0x00009503
.long 0xD0C9004A, 0x00003100
	;; [unrolled: 1-line block ×3, first 2 shown]
.long 0x86CE4E4A
.long 0xD1FE0077, 0x02060102
.long 0xD1000077, 0x013AEF89
	;; [unrolled: 1-line block ×5, first 2 shown]
.long 0x24F4F482
.long 0xD100007A, 0x013AF589
.long 0x24F60082
.long 0xD1FE0077, 0x02060103
.long 0xD1000077, 0x013AEF89
	;; [unrolled: 1-line block ×7, first 2 shown]
.long 0x86CE4E4A
.long 0xD1FE0082, 0x02060102
.long 0xD1000082, 0x013B0589
	;; [unrolled: 1-line block ×5, first 2 shown]
.long 0x25070682
.long 0xD1000083, 0x013B0789
.long 0x25100082
.long 0xD1FE0082, 0x02060103
.long 0xD1000082, 0x013B0589
	;; [unrolled: 1-line block ×58, first 2 shown]
.long 0xBF800001
.long 0x0A30302C
	;; [unrolled: 1-line block ×58, first 2 shown]
.long 0xD0CC0034, 0x00010042
.long 0xD1000014, 0x00D228F2
.long 0xD1000015, 0x00D22AF2
.long 0xD3B14018, 0x18023114
.long 0xD0CC0034, 0x00010042
.long 0xD1000016, 0x00D22CF2
.long 0xD1000017, 0x00D22EF2
.long 0xD3B1401A, 0x18023516
.long 0xD3A00018, 0x1462182D
.long 0xD3A01019, 0x1466182D
.long 0xD3A0001A, 0x146A1A2D
.long 0xD3A0101B, 0x146E1A2D
.long 0xD3B24004, 0x18023110
.long 0xD3B24006, 0x18023512
.long 0xBEC81E3E
.long 0x7E300304
.long 0x7E320305
.long 0x7E340306
.long 0x7E360307
.long 0x7E301518
.long 0x7E321519
.long 0xD2A00018, 0x00023318
.long 0x7E34151A
.long 0x7E36151B
.long 0xD2A00019, 0x0002371A
.long 0xE0741000, 0x80041809
.long 0xD0CC0034, 0x00010042
.long 0xD1000014, 0x00D228F2
.long 0xD1000015, 0x00D22AF2
.long 0xD3B14020, 0x18024114
.long 0xD0CC0034, 0x00010042
.long 0xD1000016, 0x00D22CF2
.long 0xD1000017, 0x00D22EF2
.long 0xD3B14022, 0x18024516
.long 0xD3A00020, 0x14823C2D
.long 0xD3A01021, 0x14863C2D
.long 0xD3A00022, 0x148A3E2D
.long 0xD3A01023, 0x148E3E2D
.long 0xD3B24004, 0x18024110
.long 0xD3B24006, 0x18024512
.long 0xBEC81E3E
.long 0x7E400304
.long 0x7E420305
.long 0x7E440306
.long 0x7E460307
.long 0x7E401520
.long 0x7E421521
.long 0xD2A00020, 0x00024320
.long 0x7E441522
.long 0x7E461523
.long 0xD2A00021, 0x00024722
.long 0xE0741000, 0x8004200E
	;; [unrolled: 26-line block ×14, first 2 shown]
.long 0xBF800000
.long 0x7F1202FF, 0x80000000
.long 0xD1196A01, 0x00010301
	;; [unrolled: 1-line block ×6, first 2 shown]
.long 0x86CE4E4A
.long 0xD1FE0009, 0x02060102
.long 0xD1000009, 0x013A1389
	;; [unrolled: 1-line block ×5, first 2 shown]
.long 0x24141482
.long 0xD100000A, 0x013A1589
.long 0xD9FE0000, 0x1000000A
.long 0x24160082
.long 0xE05C1000, 0x8010140B
.long 0xD1FE0009, 0x02060103
	;; [unrolled: 1-line block ×8, first 2 shown]
.long 0x86CE4E4A
.long 0xD1FE000E, 0x02060102
.long 0xD100000E, 0x013A1D89
	;; [unrolled: 1-line block ×5, first 2 shown]
.long 0x241E1E82
.long 0xD100000F, 0x013A1F89
.long 0x24380082
.long 0xD1FE000E, 0x02060103
.long 0xD100000E, 0x013A1D89
	;; [unrolled: 1-line block ×3, first 2 shown]
.long 0x924A8D26
.long 0xD1340002, 0x00009502
.long 0x924A8D24
.long 0xD1340003, 0x00009503
.long 0xD0C9004A, 0x00003100
.long 0xD0C9004E, 0x00003301
.long 0x86CE4E4A
.long 0xD1FE001D, 0x02060102
.long 0xD100001D, 0x013A3B89
.long 0xE0541000, 0x8005261D
.long 0x924A02FF, 0x00000100
.long 0xD1350024, 0x00009500
.long 0x24484882
.long 0xD1000024, 0x013A4989
.long 0x244A0082
.long 0xD1FE001D, 0x02060103
.long 0xD100001D, 0x013A3B89
.long 0xD1196A01, 0x00010301
.long 0xD1340002, 0x00004D02
.long 0xD1340003, 0x00004903
.long 0xD0C9004A, 0x00003100
.long 0xD0C9004E, 0x00003301
.long 0x86CE4E4A
.long 0xD1FE002C, 0x02060102
.long 0xD100002C, 0x013A5989
.long 0xE0541000, 0x8005302C
.long 0x924A02FF, 0x00000100
.long 0xD135002D, 0x00009500
.long 0x245A5A82
.long 0xD100002D, 0x013A5B89
.long 0x245C0082
.long 0xD1FE002C, 0x02060103
.long 0xD100002C, 0x013A5989
.long 0xD1196A01, 0x00010301
.long 0xD1340002, 0x00004D02
	;; [unrolled: 16-line block ×3, first 2 shown]
.long 0xD1340003, 0x00004903
.long 0xD0C9004A, 0x00003100
	;; [unrolled: 1-line block ×3, first 2 shown]
.long 0x86CE4E4A
.long 0xD1FE003A, 0x02060102
.long 0xD100003A, 0x013A7589
	;; [unrolled: 1-line block ×5, first 2 shown]
.long 0x24767682
.long 0xD100003B, 0x013A7789
.long 0x24800082
.long 0xD1FE003A, 0x02060103
.long 0xD100003A, 0x013A7589
	;; [unrolled: 1-line block ×3, first 2 shown]
.long 0x924A8D26
.long 0xD1340002, 0x00009502
.long 0x924A8D24
.long 0xD1340003, 0x00009503
.long 0xD0C9004A, 0x00003100
.long 0xD0C9004E, 0x00003301
.long 0x86CE4E4A
.long 0xD1FE0041, 0x02060102
.long 0xD1000041, 0x013A8389
.long 0xE0541000, 0x80054A41
.long 0x924A02FF, 0x00000100
.long 0xD1350048, 0x00009500
.long 0x24909082
.long 0xD1000048, 0x013A9189
.long 0x24920082
.long 0xD1FE0041, 0x02060103
.long 0xD1000041, 0x013A8389
.long 0xD1196A01, 0x00010301
.long 0xD1340002, 0x00004D02
.long 0xD1340003, 0x00004903
.long 0xD0C9004A, 0x00003100
.long 0xD0C9004E, 0x00003301
.long 0x86CE4E4A
.long 0xD1FE0050, 0x02060102
.long 0xD1000050, 0x013AA189
.long 0xE0541000, 0x80055450
.long 0x924A02FF, 0x00000100
.long 0xD1350051, 0x00009500
.long 0x24A2A282
.long 0xD1000051, 0x013AA389
.long 0x24A40082
.long 0xD1FE0050, 0x02060103
.long 0xD1000050, 0x013AA189
.long 0xD1196A01, 0x00010301
.long 0xD1340002, 0x00004D02
	;; [unrolled: 16-line block ×3, first 2 shown]
.long 0xD1340003, 0x00004903
.long 0xD0C9004A, 0x00003100
	;; [unrolled: 1-line block ×3, first 2 shown]
.long 0x86CE4E4A
.long 0xD1FE005E, 0x02060102
.long 0xD100005E, 0x013ABD89
	;; [unrolled: 1-line block ×5, first 2 shown]
.long 0x24BEBE82
.long 0xD100005F, 0x013ABF89
.long 0x24C80082
.long 0xD1FE005E, 0x02060103
.long 0xD100005E, 0x013ABD89
.long 0xD1196A01, 0x00011B01
.long 0x924A8D26
.long 0xD1340002, 0x00009502
.long 0x924A8D24
.long 0xD1340003, 0x00009503
.long 0xD0C9004A, 0x00003100
.long 0xD0C9004E, 0x00003301
.long 0x86CE4E4A
.long 0xD1FE0065, 0x02060102
.long 0xD1000065, 0x013ACB89
.long 0xE0541000, 0x80056E65
.long 0x924A02FF, 0x00000100
.long 0xD135006C, 0x00009500
.long 0x24D8D882
.long 0xD100006C, 0x013AD989
.long 0x24DA0082
.long 0xD1FE0065, 0x02060103
.long 0xD1000065, 0x013ACB89
.long 0xD1196A01, 0x00010301
.long 0xD1340002, 0x00004D02
.long 0xD1340003, 0x00004903
.long 0xD0C9004A, 0x00003100
.long 0xD0C9004E, 0x00003301
.long 0x86CE4E4A
.long 0xD1FE0074, 0x02060102
.long 0xD1000074, 0x013AE989
.long 0xE0541000, 0x80057874
.long 0x924A02FF, 0x00000100
.long 0xD1350075, 0x00009500
.long 0x24EAEA82
.long 0xD1000075, 0x013AEB89
.long 0x24EC0082
.long 0xD1FE0074, 0x02060103
.long 0xD1000074, 0x013AE989
.long 0xD1196A01, 0x00010301
.long 0xD1340002, 0x00004D02
	;; [unrolled: 16-line block ×4, first 2 shown]
.long 0xD3D8401A, 0x180001AA
.long 0xD3D8401B, 0x180001AE
	;; [unrolled: 1-line block ×54, first 2 shown]
.long 0xBF800001
.long 0x0A30302C
	;; [unrolled: 1-line block ×58, first 2 shown]
.long 0xD0CC0034, 0x00010042
.long 0xD1000014, 0x00D228F2
.long 0xD1000015, 0x00D22AF2
.long 0xD3B14018, 0x18023114
.long 0xD0CC0034, 0x00010042
.long 0xD1000016, 0x00D22CF2
.long 0xD1000017, 0x00D22EF2
.long 0xD3B1401A, 0x18023516
.long 0xD3A00018, 0x1462182D
.long 0xD3A01019, 0x1466182D
.long 0xD3A0001A, 0x146A1A2D
.long 0xD3A0101B, 0x146E1A2D
.long 0xD3B24004, 0x18023110
.long 0xD3B24006, 0x18023512
.long 0xBEC81E3E
.long 0x7E300304
.long 0x7E320305
.long 0x7E340306
.long 0x7E360307
.long 0x7E301518
.long 0x7E321519
.long 0xD2A00018, 0x00023318
.long 0x7E34151A
.long 0x7E36151B
.long 0xD2A00019, 0x0002371A
.long 0xE0741000, 0x80041809
.long 0xD0CC0034, 0x00010042
.long 0xD1000014, 0x00D228F2
.long 0xD1000015, 0x00D22AF2
.long 0xD3B14020, 0x18024114
.long 0xD0CC0034, 0x00010042
.long 0xD1000016, 0x00D22CF2
.long 0xD1000017, 0x00D22EF2
.long 0xD3B14022, 0x18024516
.long 0xD3A00020, 0x14823C2D
.long 0xD3A01021, 0x14863C2D
.long 0xD3A00022, 0x148A3E2D
.long 0xD3A01023, 0x148E3E2D
.long 0xD3B24004, 0x18024110
.long 0xD3B24006, 0x18024512
.long 0xBEC81E3E
.long 0x7E400304
.long 0x7E420305
.long 0x7E440306
.long 0x7E460307
.long 0x7E401520
.long 0x7E421521
.long 0xD2A00020, 0x00024320
.long 0x7E441522
.long 0x7E461523
.long 0xD2A00021, 0x00024722
.long 0xE0741000, 0x8004200E
	;; [unrolled: 26-line block ×14, first 2 shown]
.long 0xBF800000
.long 0xBF820105
	;; [unrolled: 1-line block ×3, first 2 shown]
.long 0x260808FF, 0x7FFFFFFF
.long 0x260A0AFF, 0x7FFFFFFF
	;; [unrolled: 1-line block ×4, first 2 shown]
.long 0xBE801D48
.long 0xD044006A, 0x00007504
.long 0x1408083B
.long 0x00080880
.long 0xD044006A, 0x00007505
.long 0x140A0A3B
	;; [unrolled: 3-line block ×4, first 2 shown]
.long 0x000E0E80
.long 0xBE801D48
.long 0x0A1008FF, 0x3D372713
.long 0xD1CB0008, 0x03CA1104
.long 0x0A101104
.long 0x0A1010FF, 0x40135761
.long 0x7E104108
.long 0xBF800000
.long 0x021010F2
.long 0x7E104508
.long 0xBF800000
.long 0xD1CB0008, 0x03D210F5
.long 0x0A101104
.long 0x0A0810F0
.long 0x0A100AFF, 0x3D372713
.long 0xD1CB0008, 0x03CA1105
.long 0x0A101105
.long 0x0A1010FF, 0x40135761
.long 0x7E104108
.long 0xBF800000
.long 0x021010F2
.long 0x7E104508
.long 0xBF800000
.long 0xD1CB0008, 0x03D210F5
	;; [unrolled: 12-line block ×4, first 2 shown]
.long 0x0A101107
.long 0x0A0E10F0
.long 0xBE801D48
.long 0x0A10083A
.long 0xD046006A, 0x00010104
.long 0x00080908
.long 0x0A100A3A
.long 0xD046006A, 0x00010105
.long 0x000A0B08
.long 0x0A100C3A
	;; [unrolled: 3-line block ×4, first 2 shown]
.long 0xD10B0004, 0x00010104
.long 0xD10B0005, 0x00010105
.long 0xD10B0006, 0x00010106
.long 0xD10B0007, 0x00010107
.long 0xBE801D48
.long 0x0A0808FF, 0xBFB8AA3B
.long 0x7E084104
.long 0xBF800000
.long 0x020808F2
.long 0x7E084504
.long 0xBF800000
.long 0x0A0A0AFF, 0xBFB8AA3B
.long 0x7E0A4105
.long 0xBF800000
.long 0x020A0AF2
.long 0x7E0A4505
	;; [unrolled: 6-line block ×4, first 2 shown]
.long 0xBF800000
.long 0xBE801D48
	;; [unrolled: 1-line block ×3, first 2 shown]
.long 0x0A0808FF, 0x4038AA3B
.long 0x7E084104
.long 0xBF800000
.long 0x020808F2
.long 0x7E084504
.long 0xBF800000
.long 0xD1CB0004, 0x03CA08F5
.long 0x0A08083B
.long 0x0A0A0A3A
.long 0x0A0A0AFF, 0x4038AA3B
.long 0x7E0A4105
.long 0xBF800000
.long 0x020A0AF2
.long 0x7E0A4505
.long 0xBF800000
.long 0xD1CB0005, 0x03CA0AF5
.long 0x0A0A0A3B
.long 0x0A0C0C3A
	;; [unrolled: 9-line block ×4, first 2 shown]
.long 0x0A1008FF, 0x3D372713
.long 0xD1CB0008, 0x03CA1104
.long 0x0A101104
.long 0x0A1010FF, 0x40135761
.long 0x7E104108
.long 0xBF800000
.long 0x021010F2
.long 0x7E104508
.long 0xBF800000
.long 0xD1CB0008, 0x03D210F5
.long 0x0A101104
.long 0x0A1010F0
.long 0x0A08103A
.long 0x0A100AFF, 0x3D372713
.long 0xD1CB0008, 0x03CA1105
.long 0x0A101105
.long 0x0A1010FF, 0x40135761
.long 0x7E104108
.long 0xBF800000
.long 0x021010F2
.long 0x7E104508
.long 0xBF800000
.long 0xD1CB0008, 0x03D210F5
.long 0x0A101105
.long 0x0A1010F0
.long 0x0A0A103A
	;; [unrolled: 13-line block ×4, first 2 shown]
.long 0xBE801D48
.long 0xBF810000
